;; amdgpu-corpus repo=ROCm/rocSPARSE kind=compiled arch=gfx906 opt=O3
	.amdgcn_target "amdgcn-amd-amdhsa--gfx906"
	.amdhsa_code_object_version 6
	.section	.text._ZN9rocsparseL11roti_kernelILj512EifEEvT0_PT1_PKS1_S3_NS_24const_host_device_scalarIS2_EES7_21rocsparse_index_base_b,"axG",@progbits,_ZN9rocsparseL11roti_kernelILj512EifEEvT0_PT1_PKS1_S3_NS_24const_host_device_scalarIS2_EES7_21rocsparse_index_base_b,comdat
	.globl	_ZN9rocsparseL11roti_kernelILj512EifEEvT0_PT1_PKS1_S3_NS_24const_host_device_scalarIS2_EES7_21rocsparse_index_base_b ; -- Begin function _ZN9rocsparseL11roti_kernelILj512EifEEvT0_PT1_PKS1_S3_NS_24const_host_device_scalarIS2_EES7_21rocsparse_index_base_b
	.p2align	8
	.type	_ZN9rocsparseL11roti_kernelILj512EifEEvT0_PT1_PKS1_S3_NS_24const_host_device_scalarIS2_EES7_21rocsparse_index_base_b,@function
_ZN9rocsparseL11roti_kernelILj512EifEEvT0_PT1_PKS1_S3_NS_24const_host_device_scalarIS2_EES7_21rocsparse_index_base_b: ; @_ZN9rocsparseL11roti_kernelILj512EifEEvT0_PT1_PKS1_S3_NS_24const_host_device_scalarIS2_EES7_21rocsparse_index_base_b
; %bb.0:
	s_load_dwordx2 s[8:9], s[4:5], 0x30
	s_load_dwordx4 s[0:3], s[4:5], 0x20
	s_waitcnt lgkmcnt(0)
	s_bitcmp1_b32 s9, 0
	s_cselect_b64 s[12:13], -1, 0
	s_xor_b64 s[10:11], s[12:13], -1
	s_and_b64 vcc, exec, s[12:13]
	s_cbranch_vccnz .LBB0_2
; %bb.1:
	s_load_dword s0, s[0:1], 0x0
.LBB0_2:
	s_andn2_b64 vcc, exec, s[10:11]
	s_cbranch_vccnz .LBB0_4
; %bb.3:
	s_load_dword s2, s[2:3], 0x0
.LBB0_4:
	s_waitcnt lgkmcnt(0)
	v_cmp_eq_f32_e64 s[10:11], s0, 1.0
	v_cmp_eq_f32_e64 s[12:13], s2, 0
	s_and_b64 s[10:11], s[10:11], s[12:13]
	s_and_b64 vcc, exec, s[10:11]
	s_cbranch_vccnz .LBB0_7
; %bb.5:
	s_load_dword s1, s[4:5], 0x0
	v_lshl_or_b32 v0, s6, 9, v0
	s_waitcnt lgkmcnt(0)
	v_cmp_gt_i32_e32 vcc, s1, v0
	s_and_saveexec_b64 s[6:7], vcc
	s_cbranch_execz .LBB0_7
; %bb.6:
	s_load_dwordx4 s[12:15], s[4:5], 0x8
	s_load_dwordx2 s[6:7], s[4:5], 0x18
	v_ashrrev_i32_e32 v1, 31, v0
	v_lshlrev_b64 v[0:1], 2, v[0:1]
	s_waitcnt lgkmcnt(0)
	v_mov_b32_e32 v3, s15
	v_add_co_u32_e32 v2, vcc, s14, v0
	v_addc_co_u32_e32 v3, vcc, v3, v1, vcc
	global_load_dword v2, v[2:3], off
	v_mov_b32_e32 v3, s13
	v_add_co_u32_e32 v0, vcc, s12, v0
	v_addc_co_u32_e32 v1, vcc, v3, v1, vcc
	v_mov_b32_e32 v4, s7
	global_load_dword v5, v[0:1], off
	s_waitcnt vmcnt(1)
	v_subrev_u32_e32 v2, s8, v2
	v_ashrrev_i32_e32 v3, 31, v2
	v_lshlrev_b64 v[2:3], 2, v[2:3]
	v_add_co_u32_e32 v2, vcc, s6, v2
	v_addc_co_u32_e32 v3, vcc, v4, v3, vcc
	global_load_dword v4, v[2:3], off
	s_waitcnt vmcnt(1)
	v_mul_f32_e32 v6, s2, v5
	s_waitcnt vmcnt(0)
	v_mul_f32_e32 v7, s2, v4
	v_fmac_f32_e32 v7, s0, v5
	v_fma_f32 v4, s0, v4, -v6
	global_store_dword v[0:1], v7, off
	global_store_dword v[2:3], v4, off
.LBB0_7:
	s_endpgm
	.section	.rodata,"a",@progbits
	.p2align	6, 0x0
	.amdhsa_kernel _ZN9rocsparseL11roti_kernelILj512EifEEvT0_PT1_PKS1_S3_NS_24const_host_device_scalarIS2_EES7_21rocsparse_index_base_b
		.amdhsa_group_segment_fixed_size 0
		.amdhsa_private_segment_fixed_size 0
		.amdhsa_kernarg_size 56
		.amdhsa_user_sgpr_count 6
		.amdhsa_user_sgpr_private_segment_buffer 1
		.amdhsa_user_sgpr_dispatch_ptr 0
		.amdhsa_user_sgpr_queue_ptr 0
		.amdhsa_user_sgpr_kernarg_segment_ptr 1
		.amdhsa_user_sgpr_dispatch_id 0
		.amdhsa_user_sgpr_flat_scratch_init 0
		.amdhsa_user_sgpr_private_segment_size 0
		.amdhsa_uses_dynamic_stack 0
		.amdhsa_system_sgpr_private_segment_wavefront_offset 0
		.amdhsa_system_sgpr_workgroup_id_x 1
		.amdhsa_system_sgpr_workgroup_id_y 0
		.amdhsa_system_sgpr_workgroup_id_z 0
		.amdhsa_system_sgpr_workgroup_info 0
		.amdhsa_system_vgpr_workitem_id 0
		.amdhsa_next_free_vgpr 8
		.amdhsa_next_free_sgpr 16
		.amdhsa_reserve_vcc 1
		.amdhsa_reserve_flat_scratch 0
		.amdhsa_float_round_mode_32 0
		.amdhsa_float_round_mode_16_64 0
		.amdhsa_float_denorm_mode_32 3
		.amdhsa_float_denorm_mode_16_64 3
		.amdhsa_dx10_clamp 1
		.amdhsa_ieee_mode 1
		.amdhsa_fp16_overflow 0
		.amdhsa_exception_fp_ieee_invalid_op 0
		.amdhsa_exception_fp_denorm_src 0
		.amdhsa_exception_fp_ieee_div_zero 0
		.amdhsa_exception_fp_ieee_overflow 0
		.amdhsa_exception_fp_ieee_underflow 0
		.amdhsa_exception_fp_ieee_inexact 0
		.amdhsa_exception_int_div_zero 0
	.end_amdhsa_kernel
	.section	.text._ZN9rocsparseL11roti_kernelILj512EifEEvT0_PT1_PKS1_S3_NS_24const_host_device_scalarIS2_EES7_21rocsparse_index_base_b,"axG",@progbits,_ZN9rocsparseL11roti_kernelILj512EifEEvT0_PT1_PKS1_S3_NS_24const_host_device_scalarIS2_EES7_21rocsparse_index_base_b,comdat
.Lfunc_end0:
	.size	_ZN9rocsparseL11roti_kernelILj512EifEEvT0_PT1_PKS1_S3_NS_24const_host_device_scalarIS2_EES7_21rocsparse_index_base_b, .Lfunc_end0-_ZN9rocsparseL11roti_kernelILj512EifEEvT0_PT1_PKS1_S3_NS_24const_host_device_scalarIS2_EES7_21rocsparse_index_base_b
                                        ; -- End function
	.set _ZN9rocsparseL11roti_kernelILj512EifEEvT0_PT1_PKS1_S3_NS_24const_host_device_scalarIS2_EES7_21rocsparse_index_base_b.num_vgpr, 8
	.set _ZN9rocsparseL11roti_kernelILj512EifEEvT0_PT1_PKS1_S3_NS_24const_host_device_scalarIS2_EES7_21rocsparse_index_base_b.num_agpr, 0
	.set _ZN9rocsparseL11roti_kernelILj512EifEEvT0_PT1_PKS1_S3_NS_24const_host_device_scalarIS2_EES7_21rocsparse_index_base_b.numbered_sgpr, 16
	.set _ZN9rocsparseL11roti_kernelILj512EifEEvT0_PT1_PKS1_S3_NS_24const_host_device_scalarIS2_EES7_21rocsparse_index_base_b.num_named_barrier, 0
	.set _ZN9rocsparseL11roti_kernelILj512EifEEvT0_PT1_PKS1_S3_NS_24const_host_device_scalarIS2_EES7_21rocsparse_index_base_b.private_seg_size, 0
	.set _ZN9rocsparseL11roti_kernelILj512EifEEvT0_PT1_PKS1_S3_NS_24const_host_device_scalarIS2_EES7_21rocsparse_index_base_b.uses_vcc, 1
	.set _ZN9rocsparseL11roti_kernelILj512EifEEvT0_PT1_PKS1_S3_NS_24const_host_device_scalarIS2_EES7_21rocsparse_index_base_b.uses_flat_scratch, 0
	.set _ZN9rocsparseL11roti_kernelILj512EifEEvT0_PT1_PKS1_S3_NS_24const_host_device_scalarIS2_EES7_21rocsparse_index_base_b.has_dyn_sized_stack, 0
	.set _ZN9rocsparseL11roti_kernelILj512EifEEvT0_PT1_PKS1_S3_NS_24const_host_device_scalarIS2_EES7_21rocsparse_index_base_b.has_recursion, 0
	.set _ZN9rocsparseL11roti_kernelILj512EifEEvT0_PT1_PKS1_S3_NS_24const_host_device_scalarIS2_EES7_21rocsparse_index_base_b.has_indirect_call, 0
	.section	.AMDGPU.csdata,"",@progbits
; Kernel info:
; codeLenInByte = 288
; TotalNumSgprs: 20
; NumVgprs: 8
; ScratchSize: 0
; MemoryBound: 0
; FloatMode: 240
; IeeeMode: 1
; LDSByteSize: 0 bytes/workgroup (compile time only)
; SGPRBlocks: 2
; VGPRBlocks: 1
; NumSGPRsForWavesPerEU: 20
; NumVGPRsForWavesPerEU: 8
; Occupancy: 10
; WaveLimiterHint : 1
; COMPUTE_PGM_RSRC2:SCRATCH_EN: 0
; COMPUTE_PGM_RSRC2:USER_SGPR: 6
; COMPUTE_PGM_RSRC2:TRAP_HANDLER: 0
; COMPUTE_PGM_RSRC2:TGID_X_EN: 1
; COMPUTE_PGM_RSRC2:TGID_Y_EN: 0
; COMPUTE_PGM_RSRC2:TGID_Z_EN: 0
; COMPUTE_PGM_RSRC2:TIDIG_COMP_CNT: 0
	.section	.text._ZN9rocsparseL11roti_kernelILj512Ei21rocsparse_complex_numIfEEEvT0_PT1_PKS3_S5_NS_24const_host_device_scalarIS4_EES9_21rocsparse_index_base_b,"axG",@progbits,_ZN9rocsparseL11roti_kernelILj512Ei21rocsparse_complex_numIfEEEvT0_PT1_PKS3_S5_NS_24const_host_device_scalarIS4_EES9_21rocsparse_index_base_b,comdat
	.globl	_ZN9rocsparseL11roti_kernelILj512Ei21rocsparse_complex_numIfEEEvT0_PT1_PKS3_S5_NS_24const_host_device_scalarIS4_EES9_21rocsparse_index_base_b ; -- Begin function _ZN9rocsparseL11roti_kernelILj512Ei21rocsparse_complex_numIfEEEvT0_PT1_PKS3_S5_NS_24const_host_device_scalarIS4_EES9_21rocsparse_index_base_b
	.p2align	8
	.type	_ZN9rocsparseL11roti_kernelILj512Ei21rocsparse_complex_numIfEEEvT0_PT1_PKS3_S5_NS_24const_host_device_scalarIS4_EES9_21rocsparse_index_base_b,@function
_ZN9rocsparseL11roti_kernelILj512Ei21rocsparse_complex_numIfEEEvT0_PT1_PKS3_S5_NS_24const_host_device_scalarIS4_EES9_21rocsparse_index_base_b: ; @_ZN9rocsparseL11roti_kernelILj512Ei21rocsparse_complex_numIfEEEvT0_PT1_PKS3_S5_NS_24const_host_device_scalarIS4_EES9_21rocsparse_index_base_b
; %bb.0:
	s_load_dwordx4 s[8:11], s[4:5], 0x20
	s_load_dwordx2 s[2:3], s[4:5], 0x30
	s_add_u32 s0, s4, 32
	s_addc_u32 s1, s5, 0
	s_add_u32 s7, s4, 40
	s_addc_u32 s12, s5, 0
	s_waitcnt lgkmcnt(0)
	s_bitcmp1_b32 s3, 0
	s_cselect_b32 s1, s1, s9
	s_cselect_b32 s0, s0, s8
	v_mov_b32_e32 v1, s0
	v_mov_b32_e32 v2, s1
	flat_load_dwordx2 v[1:2], v[1:2]
	s_cselect_b32 s0, s12, s11
	s_cselect_b32 s1, s7, s10
	v_mov_b32_e32 v3, s1
	v_mov_b32_e32 v4, s0
	flat_load_dwordx2 v[3:4], v[3:4]
	s_waitcnt vmcnt(0) lgkmcnt(0)
	v_cmp_eq_f32_e32 vcc, 1.0, v1
	v_cmp_eq_f32_e64 s[0:1], 0, v2
	s_and_b64 s[10:11], vcc, s[0:1]
	s_mov_b64 s[0:1], -1
	s_and_saveexec_b64 s[8:9], s[10:11]
; %bb.1:
	v_cmp_neq_f32_e32 vcc, 0, v3
	v_cmp_neq_f32_e64 s[0:1], 0, v4
	s_or_b64 s[0:1], vcc, s[0:1]
	s_orn2_b64 s[0:1], s[0:1], exec
; %bb.2:
	s_or_b64 exec, exec, s[8:9]
	s_and_saveexec_b64 s[8:9], s[0:1]
	s_cbranch_execz .LBB1_5
; %bb.3:
	s_load_dword s0, s[4:5], 0x0
	v_lshl_or_b32 v5, s6, 9, v0
	s_waitcnt lgkmcnt(0)
	v_cmp_gt_i32_e32 vcc, s0, v5
	s_and_b64 exec, exec, vcc
	s_cbranch_execz .LBB1_5
; %bb.4:
	s_load_dwordx4 s[8:11], s[4:5], 0x8
	s_load_dwordx2 s[0:1], s[4:5], 0x18
	v_ashrrev_i32_e32 v6, 31, v5
	v_lshlrev_b64 v[7:8], 2, v[5:6]
	v_lshlrev_b64 v[5:6], 3, v[5:6]
	s_waitcnt lgkmcnt(0)
	v_mov_b32_e32 v0, s11
	v_add_co_u32_e32 v7, vcc, s10, v7
	v_addc_co_u32_e32 v8, vcc, v0, v8, vcc
	global_load_dword v0, v[7:8], off
	v_mov_b32_e32 v7, s9
	v_add_co_u32_e32 v5, vcc, s8, v5
	v_addc_co_u32_e32 v6, vcc, v7, v6, vcc
	v_mov_b32_e32 v11, s1
	global_load_dwordx2 v[7:8], v[5:6], off
	s_waitcnt vmcnt(1)
	v_subrev_u32_e32 v9, s2, v0
	v_ashrrev_i32_e32 v10, 31, v9
	v_lshlrev_b64 v[9:10], 3, v[9:10]
	v_add_co_u32_e32 v9, vcc, s0, v9
	v_addc_co_u32_e32 v10, vcc, v11, v10, vcc
	global_load_dwordx2 v[11:12], v[9:10], off
	s_waitcnt vmcnt(1)
	v_mul_f32_e64 v0, v8, -v2
	v_mul_f32_e32 v13, v1, v8
	v_mul_f32_e64 v14, v8, -v4
	v_mul_f32_e32 v8, v3, v8
	v_fmac_f32_e32 v0, v1, v7
	v_fmac_f32_e32 v13, v2, v7
	;; [unrolled: 1-line block ×4, first 2 shown]
	s_waitcnt vmcnt(0)
	v_mul_f32_e64 v7, v12, -v4
	v_mul_f32_e32 v15, v3, v12
	v_mul_f32_e64 v16, v12, -v2
	v_mul_f32_e32 v12, v1, v12
	v_fmac_f32_e32 v7, v3, v11
	v_fmac_f32_e32 v15, v4, v11
	v_fmac_f32_e32 v16, v1, v11
	v_fmac_f32_e32 v12, v2, v11
	v_add_f32_e32 v0, v0, v7
	v_add_f32_e32 v1, v13, v15
	v_sub_f32_e32 v2, v16, v14
	v_sub_f32_e32 v3, v12, v8
	global_store_dwordx2 v[5:6], v[0:1], off
	global_store_dwordx2 v[9:10], v[2:3], off
.LBB1_5:
	s_endpgm
	.section	.rodata,"a",@progbits
	.p2align	6, 0x0
	.amdhsa_kernel _ZN9rocsparseL11roti_kernelILj512Ei21rocsparse_complex_numIfEEEvT0_PT1_PKS3_S5_NS_24const_host_device_scalarIS4_EES9_21rocsparse_index_base_b
		.amdhsa_group_segment_fixed_size 0
		.amdhsa_private_segment_fixed_size 0
		.amdhsa_kernarg_size 56
		.amdhsa_user_sgpr_count 6
		.amdhsa_user_sgpr_private_segment_buffer 1
		.amdhsa_user_sgpr_dispatch_ptr 0
		.amdhsa_user_sgpr_queue_ptr 0
		.amdhsa_user_sgpr_kernarg_segment_ptr 1
		.amdhsa_user_sgpr_dispatch_id 0
		.amdhsa_user_sgpr_flat_scratch_init 0
		.amdhsa_user_sgpr_private_segment_size 0
		.amdhsa_uses_dynamic_stack 0
		.amdhsa_system_sgpr_private_segment_wavefront_offset 0
		.amdhsa_system_sgpr_workgroup_id_x 1
		.amdhsa_system_sgpr_workgroup_id_y 0
		.amdhsa_system_sgpr_workgroup_id_z 0
		.amdhsa_system_sgpr_workgroup_info 0
		.amdhsa_system_vgpr_workitem_id 0
		.amdhsa_next_free_vgpr 17
		.amdhsa_next_free_sgpr 13
		.amdhsa_reserve_vcc 1
		.amdhsa_reserve_flat_scratch 0
		.amdhsa_float_round_mode_32 0
		.amdhsa_float_round_mode_16_64 0
		.amdhsa_float_denorm_mode_32 3
		.amdhsa_float_denorm_mode_16_64 3
		.amdhsa_dx10_clamp 1
		.amdhsa_ieee_mode 1
		.amdhsa_fp16_overflow 0
		.amdhsa_exception_fp_ieee_invalid_op 0
		.amdhsa_exception_fp_denorm_src 0
		.amdhsa_exception_fp_ieee_div_zero 0
		.amdhsa_exception_fp_ieee_overflow 0
		.amdhsa_exception_fp_ieee_underflow 0
		.amdhsa_exception_fp_ieee_inexact 0
		.amdhsa_exception_int_div_zero 0
	.end_amdhsa_kernel
	.section	.text._ZN9rocsparseL11roti_kernelILj512Ei21rocsparse_complex_numIfEEEvT0_PT1_PKS3_S5_NS_24const_host_device_scalarIS4_EES9_21rocsparse_index_base_b,"axG",@progbits,_ZN9rocsparseL11roti_kernelILj512Ei21rocsparse_complex_numIfEEEvT0_PT1_PKS3_S5_NS_24const_host_device_scalarIS4_EES9_21rocsparse_index_base_b,comdat
.Lfunc_end1:
	.size	_ZN9rocsparseL11roti_kernelILj512Ei21rocsparse_complex_numIfEEEvT0_PT1_PKS3_S5_NS_24const_host_device_scalarIS4_EES9_21rocsparse_index_base_b, .Lfunc_end1-_ZN9rocsparseL11roti_kernelILj512Ei21rocsparse_complex_numIfEEEvT0_PT1_PKS3_S5_NS_24const_host_device_scalarIS4_EES9_21rocsparse_index_base_b
                                        ; -- End function
	.set _ZN9rocsparseL11roti_kernelILj512Ei21rocsparse_complex_numIfEEEvT0_PT1_PKS3_S5_NS_24const_host_device_scalarIS4_EES9_21rocsparse_index_base_b.num_vgpr, 17
	.set _ZN9rocsparseL11roti_kernelILj512Ei21rocsparse_complex_numIfEEEvT0_PT1_PKS3_S5_NS_24const_host_device_scalarIS4_EES9_21rocsparse_index_base_b.num_agpr, 0
	.set _ZN9rocsparseL11roti_kernelILj512Ei21rocsparse_complex_numIfEEEvT0_PT1_PKS3_S5_NS_24const_host_device_scalarIS4_EES9_21rocsparse_index_base_b.numbered_sgpr, 13
	.set _ZN9rocsparseL11roti_kernelILj512Ei21rocsparse_complex_numIfEEEvT0_PT1_PKS3_S5_NS_24const_host_device_scalarIS4_EES9_21rocsparse_index_base_b.num_named_barrier, 0
	.set _ZN9rocsparseL11roti_kernelILj512Ei21rocsparse_complex_numIfEEEvT0_PT1_PKS3_S5_NS_24const_host_device_scalarIS4_EES9_21rocsparse_index_base_b.private_seg_size, 0
	.set _ZN9rocsparseL11roti_kernelILj512Ei21rocsparse_complex_numIfEEEvT0_PT1_PKS3_S5_NS_24const_host_device_scalarIS4_EES9_21rocsparse_index_base_b.uses_vcc, 1
	.set _ZN9rocsparseL11roti_kernelILj512Ei21rocsparse_complex_numIfEEEvT0_PT1_PKS3_S5_NS_24const_host_device_scalarIS4_EES9_21rocsparse_index_base_b.uses_flat_scratch, 0
	.set _ZN9rocsparseL11roti_kernelILj512Ei21rocsparse_complex_numIfEEEvT0_PT1_PKS3_S5_NS_24const_host_device_scalarIS4_EES9_21rocsparse_index_base_b.has_dyn_sized_stack, 0
	.set _ZN9rocsparseL11roti_kernelILj512Ei21rocsparse_complex_numIfEEEvT0_PT1_PKS3_S5_NS_24const_host_device_scalarIS4_EES9_21rocsparse_index_base_b.has_recursion, 0
	.set _ZN9rocsparseL11roti_kernelILj512Ei21rocsparse_complex_numIfEEEvT0_PT1_PKS3_S5_NS_24const_host_device_scalarIS4_EES9_21rocsparse_index_base_b.has_indirect_call, 0
	.section	.AMDGPU.csdata,"",@progbits
; Kernel info:
; codeLenInByte = 424
; TotalNumSgprs: 17
; NumVgprs: 17
; ScratchSize: 0
; MemoryBound: 0
; FloatMode: 240
; IeeeMode: 1
; LDSByteSize: 0 bytes/workgroup (compile time only)
; SGPRBlocks: 2
; VGPRBlocks: 4
; NumSGPRsForWavesPerEU: 17
; NumVGPRsForWavesPerEU: 17
; Occupancy: 10
; WaveLimiterHint : 1
; COMPUTE_PGM_RSRC2:SCRATCH_EN: 0
; COMPUTE_PGM_RSRC2:USER_SGPR: 6
; COMPUTE_PGM_RSRC2:TRAP_HANDLER: 0
; COMPUTE_PGM_RSRC2:TGID_X_EN: 1
; COMPUTE_PGM_RSRC2:TGID_Y_EN: 0
; COMPUTE_PGM_RSRC2:TGID_Z_EN: 0
; COMPUTE_PGM_RSRC2:TIDIG_COMP_CNT: 0
	.section	.text._ZN9rocsparseL11roti_kernelILj512EidEEvT0_PT1_PKS1_S3_NS_24const_host_device_scalarIS2_EES7_21rocsparse_index_base_b,"axG",@progbits,_ZN9rocsparseL11roti_kernelILj512EidEEvT0_PT1_PKS1_S3_NS_24const_host_device_scalarIS2_EES7_21rocsparse_index_base_b,comdat
	.globl	_ZN9rocsparseL11roti_kernelILj512EidEEvT0_PT1_PKS1_S3_NS_24const_host_device_scalarIS2_EES7_21rocsparse_index_base_b ; -- Begin function _ZN9rocsparseL11roti_kernelILj512EidEEvT0_PT1_PKS1_S3_NS_24const_host_device_scalarIS2_EES7_21rocsparse_index_base_b
	.p2align	8
	.type	_ZN9rocsparseL11roti_kernelILj512EidEEvT0_PT1_PKS1_S3_NS_24const_host_device_scalarIS2_EES7_21rocsparse_index_base_b,@function
_ZN9rocsparseL11roti_kernelILj512EidEEvT0_PT1_PKS1_S3_NS_24const_host_device_scalarIS2_EES7_21rocsparse_index_base_b: ; @_ZN9rocsparseL11roti_kernelILj512EidEEvT0_PT1_PKS1_S3_NS_24const_host_device_scalarIS2_EES7_21rocsparse_index_base_b
; %bb.0:
	s_load_dwordx2 s[8:9], s[4:5], 0x30
	s_load_dwordx4 s[0:3], s[4:5], 0x20
	s_waitcnt lgkmcnt(0)
	s_bitcmp1_b32 s9, 0
	s_cselect_b64 s[12:13], -1, 0
	v_mov_b32_e32 v2, s1
	s_xor_b64 s[10:11], s[12:13], -1
	s_and_b64 vcc, exec, s[12:13]
	v_mov_b32_e32 v1, s0
	s_cbranch_vccnz .LBB2_2
; %bb.1:
	v_mov_b32_e32 v2, s1
	v_mov_b32_e32 v1, s0
	flat_load_dwordx2 v[1:2], v[1:2]
.LBB2_2:
	v_mov_b32_e32 v4, s3
	s_andn2_b64 vcc, exec, s[10:11]
	v_mov_b32_e32 v3, s2
	s_cbranch_vccnz .LBB2_4
; %bb.3:
	v_mov_b32_e32 v4, s3
	v_mov_b32_e32 v3, s2
	flat_load_dwordx2 v[3:4], v[3:4]
.LBB2_4:
	s_waitcnt vmcnt(0) lgkmcnt(0)
	v_cmp_neq_f64_e32 vcc, 1.0, v[1:2]
	v_cmp_neq_f64_e64 s[0:1], 0, v[3:4]
	s_or_b64 s[0:1], vcc, s[0:1]
	s_and_saveexec_b64 s[2:3], s[0:1]
	s_cbranch_execz .LBB2_7
; %bb.5:
	s_load_dword s0, s[4:5], 0x0
	v_lshl_or_b32 v5, s6, 9, v0
	s_waitcnt lgkmcnt(0)
	v_cmp_gt_i32_e32 vcc, s0, v5
	s_and_b64 exec, exec, vcc
	s_cbranch_execz .LBB2_7
; %bb.6:
	s_load_dwordx4 s[0:3], s[4:5], 0x8
	s_load_dwordx2 s[6:7], s[4:5], 0x18
	v_ashrrev_i32_e32 v6, 31, v5
	v_lshlrev_b64 v[7:8], 2, v[5:6]
	v_lshlrev_b64 v[5:6], 3, v[5:6]
	s_waitcnt lgkmcnt(0)
	v_mov_b32_e32 v0, s3
	v_add_co_u32_e32 v7, vcc, s2, v7
	v_addc_co_u32_e32 v8, vcc, v0, v8, vcc
	global_load_dword v0, v[7:8], off
	v_mov_b32_e32 v7, s1
	v_add_co_u32_e32 v5, vcc, s0, v5
	v_addc_co_u32_e32 v6, vcc, v7, v6, vcc
	v_mov_b32_e32 v9, s7
	s_waitcnt vmcnt(0)
	v_subrev_u32_e32 v7, s8, v0
	v_ashrrev_i32_e32 v8, 31, v7
	v_lshlrev_b64 v[7:8], 3, v[7:8]
	v_add_co_u32_e32 v7, vcc, s6, v7
	v_addc_co_u32_e32 v8, vcc, v9, v8, vcc
	global_load_dwordx2 v[9:10], v[7:8], off
	global_load_dwordx2 v[11:12], v[5:6], off
	s_waitcnt vmcnt(1)
	v_mul_f64 v[13:14], v[3:4], v[9:10]
	s_waitcnt vmcnt(0)
	v_mul_f64 v[3:4], v[3:4], v[11:12]
	v_fma_f64 v[11:12], v[1:2], v[11:12], v[13:14]
	v_fma_f64 v[0:1], v[1:2], v[9:10], -v[3:4]
	global_store_dwordx2 v[5:6], v[11:12], off
	global_store_dwordx2 v[7:8], v[0:1], off
.LBB2_7:
	s_endpgm
	.section	.rodata,"a",@progbits
	.p2align	6, 0x0
	.amdhsa_kernel _ZN9rocsparseL11roti_kernelILj512EidEEvT0_PT1_PKS1_S3_NS_24const_host_device_scalarIS2_EES7_21rocsparse_index_base_b
		.amdhsa_group_segment_fixed_size 0
		.amdhsa_private_segment_fixed_size 0
		.amdhsa_kernarg_size 56
		.amdhsa_user_sgpr_count 6
		.amdhsa_user_sgpr_private_segment_buffer 1
		.amdhsa_user_sgpr_dispatch_ptr 0
		.amdhsa_user_sgpr_queue_ptr 0
		.amdhsa_user_sgpr_kernarg_segment_ptr 1
		.amdhsa_user_sgpr_dispatch_id 0
		.amdhsa_user_sgpr_flat_scratch_init 0
		.amdhsa_user_sgpr_private_segment_size 0
		.amdhsa_uses_dynamic_stack 0
		.amdhsa_system_sgpr_private_segment_wavefront_offset 0
		.amdhsa_system_sgpr_workgroup_id_x 1
		.amdhsa_system_sgpr_workgroup_id_y 0
		.amdhsa_system_sgpr_workgroup_id_z 0
		.amdhsa_system_sgpr_workgroup_info 0
		.amdhsa_system_vgpr_workitem_id 0
		.amdhsa_next_free_vgpr 15
		.amdhsa_next_free_sgpr 14
		.amdhsa_reserve_vcc 1
		.amdhsa_reserve_flat_scratch 0
		.amdhsa_float_round_mode_32 0
		.amdhsa_float_round_mode_16_64 0
		.amdhsa_float_denorm_mode_32 3
		.amdhsa_float_denorm_mode_16_64 3
		.amdhsa_dx10_clamp 1
		.amdhsa_ieee_mode 1
		.amdhsa_fp16_overflow 0
		.amdhsa_exception_fp_ieee_invalid_op 0
		.amdhsa_exception_fp_denorm_src 0
		.amdhsa_exception_fp_ieee_div_zero 0
		.amdhsa_exception_fp_ieee_overflow 0
		.amdhsa_exception_fp_ieee_underflow 0
		.amdhsa_exception_fp_ieee_inexact 0
		.amdhsa_exception_int_div_zero 0
	.end_amdhsa_kernel
	.section	.text._ZN9rocsparseL11roti_kernelILj512EidEEvT0_PT1_PKS1_S3_NS_24const_host_device_scalarIS2_EES7_21rocsparse_index_base_b,"axG",@progbits,_ZN9rocsparseL11roti_kernelILj512EidEEvT0_PT1_PKS1_S3_NS_24const_host_device_scalarIS2_EES7_21rocsparse_index_base_b,comdat
.Lfunc_end2:
	.size	_ZN9rocsparseL11roti_kernelILj512EidEEvT0_PT1_PKS1_S3_NS_24const_host_device_scalarIS2_EES7_21rocsparse_index_base_b, .Lfunc_end2-_ZN9rocsparseL11roti_kernelILj512EidEEvT0_PT1_PKS1_S3_NS_24const_host_device_scalarIS2_EES7_21rocsparse_index_base_b
                                        ; -- End function
	.set _ZN9rocsparseL11roti_kernelILj512EidEEvT0_PT1_PKS1_S3_NS_24const_host_device_scalarIS2_EES7_21rocsparse_index_base_b.num_vgpr, 15
	.set _ZN9rocsparseL11roti_kernelILj512EidEEvT0_PT1_PKS1_S3_NS_24const_host_device_scalarIS2_EES7_21rocsparse_index_base_b.num_agpr, 0
	.set _ZN9rocsparseL11roti_kernelILj512EidEEvT0_PT1_PKS1_S3_NS_24const_host_device_scalarIS2_EES7_21rocsparse_index_base_b.numbered_sgpr, 14
	.set _ZN9rocsparseL11roti_kernelILj512EidEEvT0_PT1_PKS1_S3_NS_24const_host_device_scalarIS2_EES7_21rocsparse_index_base_b.num_named_barrier, 0
	.set _ZN9rocsparseL11roti_kernelILj512EidEEvT0_PT1_PKS1_S3_NS_24const_host_device_scalarIS2_EES7_21rocsparse_index_base_b.private_seg_size, 0
	.set _ZN9rocsparseL11roti_kernelILj512EidEEvT0_PT1_PKS1_S3_NS_24const_host_device_scalarIS2_EES7_21rocsparse_index_base_b.uses_vcc, 1
	.set _ZN9rocsparseL11roti_kernelILj512EidEEvT0_PT1_PKS1_S3_NS_24const_host_device_scalarIS2_EES7_21rocsparse_index_base_b.uses_flat_scratch, 0
	.set _ZN9rocsparseL11roti_kernelILj512EidEEvT0_PT1_PKS1_S3_NS_24const_host_device_scalarIS2_EES7_21rocsparse_index_base_b.has_dyn_sized_stack, 0
	.set _ZN9rocsparseL11roti_kernelILj512EidEEvT0_PT1_PKS1_S3_NS_24const_host_device_scalarIS2_EES7_21rocsparse_index_base_b.has_recursion, 0
	.set _ZN9rocsparseL11roti_kernelILj512EidEEvT0_PT1_PKS1_S3_NS_24const_host_device_scalarIS2_EES7_21rocsparse_index_base_b.has_indirect_call, 0
	.section	.AMDGPU.csdata,"",@progbits
; Kernel info:
; codeLenInByte = 336
; TotalNumSgprs: 18
; NumVgprs: 15
; ScratchSize: 0
; MemoryBound: 0
; FloatMode: 240
; IeeeMode: 1
; LDSByteSize: 0 bytes/workgroup (compile time only)
; SGPRBlocks: 2
; VGPRBlocks: 3
; NumSGPRsForWavesPerEU: 18
; NumVGPRsForWavesPerEU: 15
; Occupancy: 10
; WaveLimiterHint : 1
; COMPUTE_PGM_RSRC2:SCRATCH_EN: 0
; COMPUTE_PGM_RSRC2:USER_SGPR: 6
; COMPUTE_PGM_RSRC2:TRAP_HANDLER: 0
; COMPUTE_PGM_RSRC2:TGID_X_EN: 1
; COMPUTE_PGM_RSRC2:TGID_Y_EN: 0
; COMPUTE_PGM_RSRC2:TGID_Z_EN: 0
; COMPUTE_PGM_RSRC2:TIDIG_COMP_CNT: 0
	.section	.text._ZN9rocsparseL11roti_kernelILj512Ei21rocsparse_complex_numIdEEEvT0_PT1_PKS3_S5_NS_24const_host_device_scalarIS4_EES9_21rocsparse_index_base_b,"axG",@progbits,_ZN9rocsparseL11roti_kernelILj512Ei21rocsparse_complex_numIdEEEvT0_PT1_PKS3_S5_NS_24const_host_device_scalarIS4_EES9_21rocsparse_index_base_b,comdat
	.globl	_ZN9rocsparseL11roti_kernelILj512Ei21rocsparse_complex_numIdEEEvT0_PT1_PKS3_S5_NS_24const_host_device_scalarIS4_EES9_21rocsparse_index_base_b ; -- Begin function _ZN9rocsparseL11roti_kernelILj512Ei21rocsparse_complex_numIdEEEvT0_PT1_PKS3_S5_NS_24const_host_device_scalarIS4_EES9_21rocsparse_index_base_b
	.p2align	8
	.type	_ZN9rocsparseL11roti_kernelILj512Ei21rocsparse_complex_numIdEEEvT0_PT1_PKS3_S5_NS_24const_host_device_scalarIS4_EES9_21rocsparse_index_base_b,@function
_ZN9rocsparseL11roti_kernelILj512Ei21rocsparse_complex_numIdEEEvT0_PT1_PKS3_S5_NS_24const_host_device_scalarIS4_EES9_21rocsparse_index_base_b: ; @_ZN9rocsparseL11roti_kernelILj512Ei21rocsparse_complex_numIdEEEvT0_PT1_PKS3_S5_NS_24const_host_device_scalarIS4_EES9_21rocsparse_index_base_b
; %bb.0:
	s_load_dwordx2 s[0:1], s[4:5], 0x20
	s_load_dwordx2 s[2:3], s[4:5], 0x30
	s_load_dwordx2 s[8:9], s[4:5], 0x40
	s_add_u32 s7, s4, 32
	s_addc_u32 s10, s5, 0
	s_add_u32 s11, s4, 48
	s_addc_u32 s12, s5, 0
	s_waitcnt lgkmcnt(0)
	s_bitcmp1_b32 s9, 0
	s_cselect_b32 s1, s10, s1
	s_cselect_b32 s0, s7, s0
	v_mov_b32_e32 v1, s0
	v_mov_b32_e32 v2, s1
	flat_load_dwordx4 v[1:4], v[1:2]
	s_cselect_b32 s0, s12, s3
	s_cselect_b32 s1, s11, s2
	v_mov_b32_e32 v5, s1
	v_mov_b32_e32 v6, s0
	flat_load_dwordx4 v[5:8], v[5:6]
	s_waitcnt vmcnt(0) lgkmcnt(0)
	v_cmp_eq_f64_e32 vcc, 1.0, v[1:2]
	v_cmp_eq_f64_e64 s[0:1], 0, v[3:4]
	s_and_b64 s[10:11], vcc, s[0:1]
	s_mov_b64 s[0:1], -1
	s_and_saveexec_b64 s[2:3], s[10:11]
	s_cbranch_execz .LBB3_2
; %bb.1:
	v_cmp_neq_f64_e32 vcc, 0, v[5:6]
	v_cmp_neq_f64_e64 s[0:1], 0, v[7:8]
	s_or_b64 s[0:1], vcc, s[0:1]
	s_orn2_b64 s[0:1], s[0:1], exec
.LBB3_2:
	s_or_b64 exec, exec, s[2:3]
	s_and_saveexec_b64 s[2:3], s[0:1]
	s_cbranch_execz .LBB3_5
; %bb.3:
	s_load_dword s0, s[4:5], 0x0
	v_lshl_or_b32 v9, s6, 9, v0
	s_waitcnt lgkmcnt(0)
	v_cmp_gt_i32_e32 vcc, s0, v9
	s_and_b64 exec, exec, vcc
	s_cbranch_execz .LBB3_5
; %bb.4:
	s_load_dwordx4 s[0:3], s[4:5], 0x8
	v_ashrrev_i32_e32 v10, 31, v9
	v_lshlrev_b64 v[11:12], 4, v[9:10]
	v_lshlrev_b64 v[9:10], 2, v[9:10]
	s_load_dwordx2 s[4:5], s[4:5], 0x18
	s_waitcnt lgkmcnt(0)
	v_mov_b32_e32 v0, s1
	v_add_co_u32_e32 v15, vcc, s0, v11
	v_addc_co_u32_e32 v16, vcc, v0, v12, vcc
	v_mov_b32_e32 v0, s3
	v_add_co_u32_e32 v9, vcc, s2, v9
	v_addc_co_u32_e32 v10, vcc, v0, v10, vcc
	global_load_dword v0, v[9:10], off
	global_load_dwordx4 v[11:14], v[15:16], off
	v_mov_b32_e32 v21, s5
	s_waitcnt vmcnt(1)
	v_subrev_u32_e32 v19, s8, v0
	v_ashrrev_i32_e32 v20, 31, v19
	v_lshlrev_b64 v[19:20], 4, v[19:20]
	s_waitcnt vmcnt(0)
	v_mul_f64 v[9:10], v[13:14], -v[3:4]
	v_add_co_u32_e32 v19, vcc, s4, v19
	v_mul_f64 v[17:18], v[1:2], v[13:14]
	v_addc_co_u32_e32 v20, vcc, v21, v20, vcc
	v_mul_f64 v[21:22], v[13:14], -v[7:8]
	v_mul_f64 v[13:14], v[5:6], v[13:14]
	v_fma_f64 v[23:24], v[1:2], v[11:12], v[9:10]
	v_fma_f64 v[17:18], v[3:4], v[11:12], v[17:18]
	;; [unrolled: 1-line block ×4, first 2 shown]
	global_load_dwordx4 v[9:12], v[19:20], off
	s_waitcnt vmcnt(0)
	v_mul_f64 v[25:26], v[11:12], -v[7:8]
	v_fma_f64 v[25:26], v[5:6], v[9:10], v[25:26]
	v_mul_f64 v[5:6], v[5:6], v[11:12]
	v_fma_f64 v[5:6], v[7:8], v[9:10], v[5:6]
	v_mul_f64 v[7:8], v[11:12], -v[3:4]
	v_fma_f64 v[7:8], v[1:2], v[9:10], v[7:8]
	v_mul_f64 v[0:1], v[1:2], v[11:12]
	v_fma_f64 v[9:10], v[3:4], v[9:10], v[0:1]
	v_add_f64 v[0:1], v[23:24], v[25:26]
	v_add_f64 v[2:3], v[17:18], v[5:6]
	v_add_f64 v[4:5], v[7:8], -v[21:22]
	v_add_f64 v[6:7], v[9:10], -v[13:14]
	global_store_dwordx4 v[15:16], v[0:3], off
	global_store_dwordx4 v[19:20], v[4:7], off
.LBB3_5:
	s_endpgm
	.section	.rodata,"a",@progbits
	.p2align	6, 0x0
	.amdhsa_kernel _ZN9rocsparseL11roti_kernelILj512Ei21rocsparse_complex_numIdEEEvT0_PT1_PKS3_S5_NS_24const_host_device_scalarIS4_EES9_21rocsparse_index_base_b
		.amdhsa_group_segment_fixed_size 0
		.amdhsa_private_segment_fixed_size 0
		.amdhsa_kernarg_size 72
		.amdhsa_user_sgpr_count 6
		.amdhsa_user_sgpr_private_segment_buffer 1
		.amdhsa_user_sgpr_dispatch_ptr 0
		.amdhsa_user_sgpr_queue_ptr 0
		.amdhsa_user_sgpr_kernarg_segment_ptr 1
		.amdhsa_user_sgpr_dispatch_id 0
		.amdhsa_user_sgpr_flat_scratch_init 0
		.amdhsa_user_sgpr_private_segment_size 0
		.amdhsa_uses_dynamic_stack 0
		.amdhsa_system_sgpr_private_segment_wavefront_offset 0
		.amdhsa_system_sgpr_workgroup_id_x 1
		.amdhsa_system_sgpr_workgroup_id_y 0
		.amdhsa_system_sgpr_workgroup_id_z 0
		.amdhsa_system_sgpr_workgroup_info 0
		.amdhsa_system_vgpr_workitem_id 0
		.amdhsa_next_free_vgpr 27
		.amdhsa_next_free_sgpr 13
		.amdhsa_reserve_vcc 1
		.amdhsa_reserve_flat_scratch 0
		.amdhsa_float_round_mode_32 0
		.amdhsa_float_round_mode_16_64 0
		.amdhsa_float_denorm_mode_32 3
		.amdhsa_float_denorm_mode_16_64 3
		.amdhsa_dx10_clamp 1
		.amdhsa_ieee_mode 1
		.amdhsa_fp16_overflow 0
		.amdhsa_exception_fp_ieee_invalid_op 0
		.amdhsa_exception_fp_denorm_src 0
		.amdhsa_exception_fp_ieee_div_zero 0
		.amdhsa_exception_fp_ieee_overflow 0
		.amdhsa_exception_fp_ieee_underflow 0
		.amdhsa_exception_fp_ieee_inexact 0
		.amdhsa_exception_int_div_zero 0
	.end_amdhsa_kernel
	.section	.text._ZN9rocsparseL11roti_kernelILj512Ei21rocsparse_complex_numIdEEEvT0_PT1_PKS3_S5_NS_24const_host_device_scalarIS4_EES9_21rocsparse_index_base_b,"axG",@progbits,_ZN9rocsparseL11roti_kernelILj512Ei21rocsparse_complex_numIdEEEvT0_PT1_PKS3_S5_NS_24const_host_device_scalarIS4_EES9_21rocsparse_index_base_b,comdat
.Lfunc_end3:
	.size	_ZN9rocsparseL11roti_kernelILj512Ei21rocsparse_complex_numIdEEEvT0_PT1_PKS3_S5_NS_24const_host_device_scalarIS4_EES9_21rocsparse_index_base_b, .Lfunc_end3-_ZN9rocsparseL11roti_kernelILj512Ei21rocsparse_complex_numIdEEEvT0_PT1_PKS3_S5_NS_24const_host_device_scalarIS4_EES9_21rocsparse_index_base_b
                                        ; -- End function
	.set _ZN9rocsparseL11roti_kernelILj512Ei21rocsparse_complex_numIdEEEvT0_PT1_PKS3_S5_NS_24const_host_device_scalarIS4_EES9_21rocsparse_index_base_b.num_vgpr, 27
	.set _ZN9rocsparseL11roti_kernelILj512Ei21rocsparse_complex_numIdEEEvT0_PT1_PKS3_S5_NS_24const_host_device_scalarIS4_EES9_21rocsparse_index_base_b.num_agpr, 0
	.set _ZN9rocsparseL11roti_kernelILj512Ei21rocsparse_complex_numIdEEEvT0_PT1_PKS3_S5_NS_24const_host_device_scalarIS4_EES9_21rocsparse_index_base_b.numbered_sgpr, 13
	.set _ZN9rocsparseL11roti_kernelILj512Ei21rocsparse_complex_numIdEEEvT0_PT1_PKS3_S5_NS_24const_host_device_scalarIS4_EES9_21rocsparse_index_base_b.num_named_barrier, 0
	.set _ZN9rocsparseL11roti_kernelILj512Ei21rocsparse_complex_numIdEEEvT0_PT1_PKS3_S5_NS_24const_host_device_scalarIS4_EES9_21rocsparse_index_base_b.private_seg_size, 0
	.set _ZN9rocsparseL11roti_kernelILj512Ei21rocsparse_complex_numIdEEEvT0_PT1_PKS3_S5_NS_24const_host_device_scalarIS4_EES9_21rocsparse_index_base_b.uses_vcc, 1
	.set _ZN9rocsparseL11roti_kernelILj512Ei21rocsparse_complex_numIdEEEvT0_PT1_PKS3_S5_NS_24const_host_device_scalarIS4_EES9_21rocsparse_index_base_b.uses_flat_scratch, 0
	.set _ZN9rocsparseL11roti_kernelILj512Ei21rocsparse_complex_numIdEEEvT0_PT1_PKS3_S5_NS_24const_host_device_scalarIS4_EES9_21rocsparse_index_base_b.has_dyn_sized_stack, 0
	.set _ZN9rocsparseL11roti_kernelILj512Ei21rocsparse_complex_numIdEEEvT0_PT1_PKS3_S5_NS_24const_host_device_scalarIS4_EES9_21rocsparse_index_base_b.has_recursion, 0
	.set _ZN9rocsparseL11roti_kernelILj512Ei21rocsparse_complex_numIdEEEvT0_PT1_PKS3_S5_NS_24const_host_device_scalarIS4_EES9_21rocsparse_index_base_b.has_indirect_call, 0
	.section	.AMDGPU.csdata,"",@progbits
; Kernel info:
; codeLenInByte = 500
; TotalNumSgprs: 17
; NumVgprs: 27
; ScratchSize: 0
; MemoryBound: 0
; FloatMode: 240
; IeeeMode: 1
; LDSByteSize: 0 bytes/workgroup (compile time only)
; SGPRBlocks: 2
; VGPRBlocks: 6
; NumSGPRsForWavesPerEU: 17
; NumVGPRsForWavesPerEU: 27
; Occupancy: 9
; WaveLimiterHint : 1
; COMPUTE_PGM_RSRC2:SCRATCH_EN: 0
; COMPUTE_PGM_RSRC2:USER_SGPR: 6
; COMPUTE_PGM_RSRC2:TRAP_HANDLER: 0
; COMPUTE_PGM_RSRC2:TGID_X_EN: 1
; COMPUTE_PGM_RSRC2:TGID_Y_EN: 0
; COMPUTE_PGM_RSRC2:TGID_Z_EN: 0
; COMPUTE_PGM_RSRC2:TIDIG_COMP_CNT: 0
	.section	.text._ZN9rocsparseL11roti_kernelILj512ElfEEvT0_PT1_PKS1_S3_NS_24const_host_device_scalarIS2_EES7_21rocsparse_index_base_b,"axG",@progbits,_ZN9rocsparseL11roti_kernelILj512ElfEEvT0_PT1_PKS1_S3_NS_24const_host_device_scalarIS2_EES7_21rocsparse_index_base_b,comdat
	.globl	_ZN9rocsparseL11roti_kernelILj512ElfEEvT0_PT1_PKS1_S3_NS_24const_host_device_scalarIS2_EES7_21rocsparse_index_base_b ; -- Begin function _ZN9rocsparseL11roti_kernelILj512ElfEEvT0_PT1_PKS1_S3_NS_24const_host_device_scalarIS2_EES7_21rocsparse_index_base_b
	.p2align	8
	.type	_ZN9rocsparseL11roti_kernelILj512ElfEEvT0_PT1_PKS1_S3_NS_24const_host_device_scalarIS2_EES7_21rocsparse_index_base_b,@function
_ZN9rocsparseL11roti_kernelILj512ElfEEvT0_PT1_PKS1_S3_NS_24const_host_device_scalarIS2_EES7_21rocsparse_index_base_b: ; @_ZN9rocsparseL11roti_kernelILj512ElfEEvT0_PT1_PKS1_S3_NS_24const_host_device_scalarIS2_EES7_21rocsparse_index_base_b
; %bb.0:
	s_load_dwordx2 s[8:9], s[4:5], 0x30
	s_load_dwordx4 s[0:3], s[4:5], 0x20
	s_waitcnt lgkmcnt(0)
	s_bitcmp1_b32 s9, 0
	s_cselect_b64 s[12:13], -1, 0
	s_xor_b64 s[10:11], s[12:13], -1
	s_and_b64 vcc, exec, s[12:13]
	s_cbranch_vccnz .LBB4_2
; %bb.1:
	s_load_dword s0, s[0:1], 0x0
.LBB4_2:
	s_andn2_b64 vcc, exec, s[10:11]
	s_cbranch_vccnz .LBB4_4
; %bb.3:
	s_load_dword s2, s[2:3], 0x0
.LBB4_4:
	s_waitcnt lgkmcnt(0)
	v_cmp_eq_f32_e64 s[10:11], s0, 1.0
	v_cmp_eq_f32_e64 s[12:13], s2, 0
	s_and_b64 s[10:11], s[10:11], s[12:13]
	s_and_b64 vcc, exec, s[10:11]
	s_cbranch_vccnz .LBB4_7
; %bb.5:
	s_load_dwordx2 s[10:11], s[4:5], 0x0
	v_lshl_or_b32 v0, s6, 9, v0
	v_mov_b32_e32 v1, 0
	s_waitcnt lgkmcnt(0)
	v_cmp_gt_i64_e32 vcc, s[10:11], v[0:1]
	s_and_saveexec_b64 s[6:7], vcc
	s_cbranch_execz .LBB4_7
; %bb.6:
	s_load_dwordx4 s[12:15], s[4:5], 0x8
	s_load_dwordx2 s[6:7], s[4:5], 0x18
	v_lshlrev_b64 v[2:3], 3, v[0:1]
	v_lshlrev_b64 v[0:1], 2, v[0:1]
	s_waitcnt lgkmcnt(0)
	v_mov_b32_e32 v4, s15
	v_add_co_u32_e32 v2, vcc, s14, v2
	v_addc_co_u32_e32 v3, vcc, v4, v3, vcc
	global_load_dwordx2 v[2:3], v[2:3], off
	v_mov_b32_e32 v4, s13
	v_add_co_u32_e32 v0, vcc, s12, v0
	v_addc_co_u32_e32 v1, vcc, v4, v1, vcc
	v_mov_b32_e32 v5, s7
	global_load_dword v4, v[0:1], off
	s_waitcnt vmcnt(1)
	v_subrev_co_u32_e32 v2, vcc, s8, v2
	v_subbrev_co_u32_e32 v3, vcc, 0, v3, vcc
	v_lshlrev_b64 v[2:3], 2, v[2:3]
	v_add_co_u32_e32 v2, vcc, s6, v2
	v_addc_co_u32_e32 v3, vcc, v5, v3, vcc
	global_load_dword v5, v[2:3], off
	s_waitcnt vmcnt(1)
	v_mul_f32_e32 v6, s2, v4
	s_waitcnt vmcnt(0)
	v_mul_f32_e32 v7, s2, v5
	v_fmac_f32_e32 v7, s0, v4
	v_fma_f32 v5, s0, v5, -v6
	global_store_dword v[0:1], v7, off
	global_store_dword v[2:3], v5, off
.LBB4_7:
	s_endpgm
	.section	.rodata,"a",@progbits
	.p2align	6, 0x0
	.amdhsa_kernel _ZN9rocsparseL11roti_kernelILj512ElfEEvT0_PT1_PKS1_S3_NS_24const_host_device_scalarIS2_EES7_21rocsparse_index_base_b
		.amdhsa_group_segment_fixed_size 0
		.amdhsa_private_segment_fixed_size 0
		.amdhsa_kernarg_size 56
		.amdhsa_user_sgpr_count 6
		.amdhsa_user_sgpr_private_segment_buffer 1
		.amdhsa_user_sgpr_dispatch_ptr 0
		.amdhsa_user_sgpr_queue_ptr 0
		.amdhsa_user_sgpr_kernarg_segment_ptr 1
		.amdhsa_user_sgpr_dispatch_id 0
		.amdhsa_user_sgpr_flat_scratch_init 0
		.amdhsa_user_sgpr_private_segment_size 0
		.amdhsa_uses_dynamic_stack 0
		.amdhsa_system_sgpr_private_segment_wavefront_offset 0
		.amdhsa_system_sgpr_workgroup_id_x 1
		.amdhsa_system_sgpr_workgroup_id_y 0
		.amdhsa_system_sgpr_workgroup_id_z 0
		.amdhsa_system_sgpr_workgroup_info 0
		.amdhsa_system_vgpr_workitem_id 0
		.amdhsa_next_free_vgpr 8
		.amdhsa_next_free_sgpr 16
		.amdhsa_reserve_vcc 1
		.amdhsa_reserve_flat_scratch 0
		.amdhsa_float_round_mode_32 0
		.amdhsa_float_round_mode_16_64 0
		.amdhsa_float_denorm_mode_32 3
		.amdhsa_float_denorm_mode_16_64 3
		.amdhsa_dx10_clamp 1
		.amdhsa_ieee_mode 1
		.amdhsa_fp16_overflow 0
		.amdhsa_exception_fp_ieee_invalid_op 0
		.amdhsa_exception_fp_denorm_src 0
		.amdhsa_exception_fp_ieee_div_zero 0
		.amdhsa_exception_fp_ieee_overflow 0
		.amdhsa_exception_fp_ieee_underflow 0
		.amdhsa_exception_fp_ieee_inexact 0
		.amdhsa_exception_int_div_zero 0
	.end_amdhsa_kernel
	.section	.text._ZN9rocsparseL11roti_kernelILj512ElfEEvT0_PT1_PKS1_S3_NS_24const_host_device_scalarIS2_EES7_21rocsparse_index_base_b,"axG",@progbits,_ZN9rocsparseL11roti_kernelILj512ElfEEvT0_PT1_PKS1_S3_NS_24const_host_device_scalarIS2_EES7_21rocsparse_index_base_b,comdat
.Lfunc_end4:
	.size	_ZN9rocsparseL11roti_kernelILj512ElfEEvT0_PT1_PKS1_S3_NS_24const_host_device_scalarIS2_EES7_21rocsparse_index_base_b, .Lfunc_end4-_ZN9rocsparseL11roti_kernelILj512ElfEEvT0_PT1_PKS1_S3_NS_24const_host_device_scalarIS2_EES7_21rocsparse_index_base_b
                                        ; -- End function
	.set _ZN9rocsparseL11roti_kernelILj512ElfEEvT0_PT1_PKS1_S3_NS_24const_host_device_scalarIS2_EES7_21rocsparse_index_base_b.num_vgpr, 8
	.set _ZN9rocsparseL11roti_kernelILj512ElfEEvT0_PT1_PKS1_S3_NS_24const_host_device_scalarIS2_EES7_21rocsparse_index_base_b.num_agpr, 0
	.set _ZN9rocsparseL11roti_kernelILj512ElfEEvT0_PT1_PKS1_S3_NS_24const_host_device_scalarIS2_EES7_21rocsparse_index_base_b.numbered_sgpr, 16
	.set _ZN9rocsparseL11roti_kernelILj512ElfEEvT0_PT1_PKS1_S3_NS_24const_host_device_scalarIS2_EES7_21rocsparse_index_base_b.num_named_barrier, 0
	.set _ZN9rocsparseL11roti_kernelILj512ElfEEvT0_PT1_PKS1_S3_NS_24const_host_device_scalarIS2_EES7_21rocsparse_index_base_b.private_seg_size, 0
	.set _ZN9rocsparseL11roti_kernelILj512ElfEEvT0_PT1_PKS1_S3_NS_24const_host_device_scalarIS2_EES7_21rocsparse_index_base_b.uses_vcc, 1
	.set _ZN9rocsparseL11roti_kernelILj512ElfEEvT0_PT1_PKS1_S3_NS_24const_host_device_scalarIS2_EES7_21rocsparse_index_base_b.uses_flat_scratch, 0
	.set _ZN9rocsparseL11roti_kernelILj512ElfEEvT0_PT1_PKS1_S3_NS_24const_host_device_scalarIS2_EES7_21rocsparse_index_base_b.has_dyn_sized_stack, 0
	.set _ZN9rocsparseL11roti_kernelILj512ElfEEvT0_PT1_PKS1_S3_NS_24const_host_device_scalarIS2_EES7_21rocsparse_index_base_b.has_recursion, 0
	.set _ZN9rocsparseL11roti_kernelILj512ElfEEvT0_PT1_PKS1_S3_NS_24const_host_device_scalarIS2_EES7_21rocsparse_index_base_b.has_indirect_call, 0
	.section	.AMDGPU.csdata,"",@progbits
; Kernel info:
; codeLenInByte = 296
; TotalNumSgprs: 20
; NumVgprs: 8
; ScratchSize: 0
; MemoryBound: 0
; FloatMode: 240
; IeeeMode: 1
; LDSByteSize: 0 bytes/workgroup (compile time only)
; SGPRBlocks: 2
; VGPRBlocks: 1
; NumSGPRsForWavesPerEU: 20
; NumVGPRsForWavesPerEU: 8
; Occupancy: 10
; WaveLimiterHint : 1
; COMPUTE_PGM_RSRC2:SCRATCH_EN: 0
; COMPUTE_PGM_RSRC2:USER_SGPR: 6
; COMPUTE_PGM_RSRC2:TRAP_HANDLER: 0
; COMPUTE_PGM_RSRC2:TGID_X_EN: 1
; COMPUTE_PGM_RSRC2:TGID_Y_EN: 0
; COMPUTE_PGM_RSRC2:TGID_Z_EN: 0
; COMPUTE_PGM_RSRC2:TIDIG_COMP_CNT: 0
	.section	.text._ZN9rocsparseL11roti_kernelILj512El21rocsparse_complex_numIfEEEvT0_PT1_PKS3_S5_NS_24const_host_device_scalarIS4_EES9_21rocsparse_index_base_b,"axG",@progbits,_ZN9rocsparseL11roti_kernelILj512El21rocsparse_complex_numIfEEEvT0_PT1_PKS3_S5_NS_24const_host_device_scalarIS4_EES9_21rocsparse_index_base_b,comdat
	.globl	_ZN9rocsparseL11roti_kernelILj512El21rocsparse_complex_numIfEEEvT0_PT1_PKS3_S5_NS_24const_host_device_scalarIS4_EES9_21rocsparse_index_base_b ; -- Begin function _ZN9rocsparseL11roti_kernelILj512El21rocsparse_complex_numIfEEEvT0_PT1_PKS3_S5_NS_24const_host_device_scalarIS4_EES9_21rocsparse_index_base_b
	.p2align	8
	.type	_ZN9rocsparseL11roti_kernelILj512El21rocsparse_complex_numIfEEEvT0_PT1_PKS3_S5_NS_24const_host_device_scalarIS4_EES9_21rocsparse_index_base_b,@function
_ZN9rocsparseL11roti_kernelILj512El21rocsparse_complex_numIfEEEvT0_PT1_PKS3_S5_NS_24const_host_device_scalarIS4_EES9_21rocsparse_index_base_b: ; @_ZN9rocsparseL11roti_kernelILj512El21rocsparse_complex_numIfEEEvT0_PT1_PKS3_S5_NS_24const_host_device_scalarIS4_EES9_21rocsparse_index_base_b
; %bb.0:
	s_load_dwordx4 s[8:11], s[4:5], 0x20
	s_load_dwordx2 s[2:3], s[4:5], 0x30
	s_add_u32 s0, s4, 32
	s_addc_u32 s1, s5, 0
	s_add_u32 s7, s4, 40
	s_addc_u32 s12, s5, 0
	s_waitcnt lgkmcnt(0)
	s_bitcmp1_b32 s3, 0
	s_cselect_b32 s1, s1, s9
	s_cselect_b32 s0, s0, s8
	v_mov_b32_e32 v1, s0
	v_mov_b32_e32 v2, s1
	flat_load_dwordx2 v[1:2], v[1:2]
	s_cselect_b32 s0, s12, s11
	s_cselect_b32 s1, s7, s10
	v_mov_b32_e32 v3, s1
	v_mov_b32_e32 v4, s0
	flat_load_dwordx2 v[3:4], v[3:4]
	s_waitcnt vmcnt(0) lgkmcnt(0)
	v_cmp_eq_f32_e32 vcc, 1.0, v1
	v_cmp_eq_f32_e64 s[0:1], 0, v2
	s_and_b64 s[10:11], vcc, s[0:1]
	s_mov_b64 s[0:1], -1
	s_and_saveexec_b64 s[8:9], s[10:11]
; %bb.1:
	v_cmp_neq_f32_e32 vcc, 0, v3
	v_cmp_neq_f32_e64 s[0:1], 0, v4
	s_or_b64 s[0:1], vcc, s[0:1]
	s_orn2_b64 s[0:1], s[0:1], exec
; %bb.2:
	s_or_b64 exec, exec, s[8:9]
	s_and_saveexec_b64 s[8:9], s[0:1]
	s_cbranch_execz .LBB5_5
; %bb.3:
	s_load_dwordx2 s[0:1], s[4:5], 0x0
	v_lshl_or_b32 v5, s6, 9, v0
	v_mov_b32_e32 v6, 0
	s_waitcnt lgkmcnt(0)
	v_cmp_gt_i64_e32 vcc, s[0:1], v[5:6]
	s_and_b64 exec, exec, vcc
	s_cbranch_execz .LBB5_5
; %bb.4:
	s_load_dwordx4 s[8:11], s[4:5], 0x8
	s_load_dwordx2 s[0:1], s[4:5], 0x18
	v_lshlrev_b64 v[5:6], 3, v[5:6]
	s_waitcnt lgkmcnt(0)
	v_mov_b32_e32 v0, s11
	v_add_co_u32_e32 v7, vcc, s10, v5
	v_addc_co_u32_e32 v8, vcc, v0, v6, vcc
	global_load_dwordx2 v[7:8], v[7:8], off
	v_mov_b32_e32 v0, s9
	v_add_co_u32_e32 v5, vcc, s8, v5
	v_addc_co_u32_e32 v6, vcc, v0, v6, vcc
	v_mov_b32_e32 v11, s1
	global_load_dwordx2 v[9:10], v[5:6], off
	s_waitcnt vmcnt(1)
	v_subrev_co_u32_e32 v7, vcc, s2, v7
	v_subbrev_co_u32_e32 v8, vcc, 0, v8, vcc
	v_lshlrev_b64 v[7:8], 3, v[7:8]
	v_add_co_u32_e32 v7, vcc, s0, v7
	v_addc_co_u32_e32 v8, vcc, v11, v8, vcc
	global_load_dwordx2 v[11:12], v[7:8], off
	s_waitcnt vmcnt(1)
	v_mul_f32_e64 v0, v10, -v2
	v_mul_f32_e32 v13, v1, v10
	v_mul_f32_e64 v14, v10, -v4
	v_mul_f32_e32 v10, v3, v10
	v_fmac_f32_e32 v0, v1, v9
	v_fmac_f32_e32 v13, v2, v9
	;; [unrolled: 1-line block ×4, first 2 shown]
	s_waitcnt vmcnt(0)
	v_mul_f32_e64 v9, v12, -v4
	v_mul_f32_e32 v15, v3, v12
	v_mul_f32_e64 v16, v12, -v2
	v_mul_f32_e32 v12, v1, v12
	v_fmac_f32_e32 v9, v3, v11
	v_fmac_f32_e32 v15, v4, v11
	;; [unrolled: 1-line block ×4, first 2 shown]
	v_add_f32_e32 v0, v0, v9
	v_add_f32_e32 v1, v13, v15
	v_sub_f32_e32 v2, v16, v14
	v_sub_f32_e32 v3, v12, v10
	global_store_dwordx2 v[5:6], v[0:1], off
	global_store_dwordx2 v[7:8], v[2:3], off
.LBB5_5:
	s_endpgm
	.section	.rodata,"a",@progbits
	.p2align	6, 0x0
	.amdhsa_kernel _ZN9rocsparseL11roti_kernelILj512El21rocsparse_complex_numIfEEEvT0_PT1_PKS3_S5_NS_24const_host_device_scalarIS4_EES9_21rocsparse_index_base_b
		.amdhsa_group_segment_fixed_size 0
		.amdhsa_private_segment_fixed_size 0
		.amdhsa_kernarg_size 56
		.amdhsa_user_sgpr_count 6
		.amdhsa_user_sgpr_private_segment_buffer 1
		.amdhsa_user_sgpr_dispatch_ptr 0
		.amdhsa_user_sgpr_queue_ptr 0
		.amdhsa_user_sgpr_kernarg_segment_ptr 1
		.amdhsa_user_sgpr_dispatch_id 0
		.amdhsa_user_sgpr_flat_scratch_init 0
		.amdhsa_user_sgpr_private_segment_size 0
		.amdhsa_uses_dynamic_stack 0
		.amdhsa_system_sgpr_private_segment_wavefront_offset 0
		.amdhsa_system_sgpr_workgroup_id_x 1
		.amdhsa_system_sgpr_workgroup_id_y 0
		.amdhsa_system_sgpr_workgroup_id_z 0
		.amdhsa_system_sgpr_workgroup_info 0
		.amdhsa_system_vgpr_workitem_id 0
		.amdhsa_next_free_vgpr 17
		.amdhsa_next_free_sgpr 13
		.amdhsa_reserve_vcc 1
		.amdhsa_reserve_flat_scratch 0
		.amdhsa_float_round_mode_32 0
		.amdhsa_float_round_mode_16_64 0
		.amdhsa_float_denorm_mode_32 3
		.amdhsa_float_denorm_mode_16_64 3
		.amdhsa_dx10_clamp 1
		.amdhsa_ieee_mode 1
		.amdhsa_fp16_overflow 0
		.amdhsa_exception_fp_ieee_invalid_op 0
		.amdhsa_exception_fp_denorm_src 0
		.amdhsa_exception_fp_ieee_div_zero 0
		.amdhsa_exception_fp_ieee_overflow 0
		.amdhsa_exception_fp_ieee_underflow 0
		.amdhsa_exception_fp_ieee_inexact 0
		.amdhsa_exception_int_div_zero 0
	.end_amdhsa_kernel
	.section	.text._ZN9rocsparseL11roti_kernelILj512El21rocsparse_complex_numIfEEEvT0_PT1_PKS3_S5_NS_24const_host_device_scalarIS4_EES9_21rocsparse_index_base_b,"axG",@progbits,_ZN9rocsparseL11roti_kernelILj512El21rocsparse_complex_numIfEEEvT0_PT1_PKS3_S5_NS_24const_host_device_scalarIS4_EES9_21rocsparse_index_base_b,comdat
.Lfunc_end5:
	.size	_ZN9rocsparseL11roti_kernelILj512El21rocsparse_complex_numIfEEEvT0_PT1_PKS3_S5_NS_24const_host_device_scalarIS4_EES9_21rocsparse_index_base_b, .Lfunc_end5-_ZN9rocsparseL11roti_kernelILj512El21rocsparse_complex_numIfEEEvT0_PT1_PKS3_S5_NS_24const_host_device_scalarIS4_EES9_21rocsparse_index_base_b
                                        ; -- End function
	.set _ZN9rocsparseL11roti_kernelILj512El21rocsparse_complex_numIfEEEvT0_PT1_PKS3_S5_NS_24const_host_device_scalarIS4_EES9_21rocsparse_index_base_b.num_vgpr, 17
	.set _ZN9rocsparseL11roti_kernelILj512El21rocsparse_complex_numIfEEEvT0_PT1_PKS3_S5_NS_24const_host_device_scalarIS4_EES9_21rocsparse_index_base_b.num_agpr, 0
	.set _ZN9rocsparseL11roti_kernelILj512El21rocsparse_complex_numIfEEEvT0_PT1_PKS3_S5_NS_24const_host_device_scalarIS4_EES9_21rocsparse_index_base_b.numbered_sgpr, 13
	.set _ZN9rocsparseL11roti_kernelILj512El21rocsparse_complex_numIfEEEvT0_PT1_PKS3_S5_NS_24const_host_device_scalarIS4_EES9_21rocsparse_index_base_b.num_named_barrier, 0
	.set _ZN9rocsparseL11roti_kernelILj512El21rocsparse_complex_numIfEEEvT0_PT1_PKS3_S5_NS_24const_host_device_scalarIS4_EES9_21rocsparse_index_base_b.private_seg_size, 0
	.set _ZN9rocsparseL11roti_kernelILj512El21rocsparse_complex_numIfEEEvT0_PT1_PKS3_S5_NS_24const_host_device_scalarIS4_EES9_21rocsparse_index_base_b.uses_vcc, 1
	.set _ZN9rocsparseL11roti_kernelILj512El21rocsparse_complex_numIfEEEvT0_PT1_PKS3_S5_NS_24const_host_device_scalarIS4_EES9_21rocsparse_index_base_b.uses_flat_scratch, 0
	.set _ZN9rocsparseL11roti_kernelILj512El21rocsparse_complex_numIfEEEvT0_PT1_PKS3_S5_NS_24const_host_device_scalarIS4_EES9_21rocsparse_index_base_b.has_dyn_sized_stack, 0
	.set _ZN9rocsparseL11roti_kernelILj512El21rocsparse_complex_numIfEEEvT0_PT1_PKS3_S5_NS_24const_host_device_scalarIS4_EES9_21rocsparse_index_base_b.has_recursion, 0
	.set _ZN9rocsparseL11roti_kernelILj512El21rocsparse_complex_numIfEEEvT0_PT1_PKS3_S5_NS_24const_host_device_scalarIS4_EES9_21rocsparse_index_base_b.has_indirect_call, 0
	.section	.AMDGPU.csdata,"",@progbits
; Kernel info:
; codeLenInByte = 416
; TotalNumSgprs: 17
; NumVgprs: 17
; ScratchSize: 0
; MemoryBound: 0
; FloatMode: 240
; IeeeMode: 1
; LDSByteSize: 0 bytes/workgroup (compile time only)
; SGPRBlocks: 2
; VGPRBlocks: 4
; NumSGPRsForWavesPerEU: 17
; NumVGPRsForWavesPerEU: 17
; Occupancy: 10
; WaveLimiterHint : 1
; COMPUTE_PGM_RSRC2:SCRATCH_EN: 0
; COMPUTE_PGM_RSRC2:USER_SGPR: 6
; COMPUTE_PGM_RSRC2:TRAP_HANDLER: 0
; COMPUTE_PGM_RSRC2:TGID_X_EN: 1
; COMPUTE_PGM_RSRC2:TGID_Y_EN: 0
; COMPUTE_PGM_RSRC2:TGID_Z_EN: 0
; COMPUTE_PGM_RSRC2:TIDIG_COMP_CNT: 0
	.section	.text._ZN9rocsparseL11roti_kernelILj512EldEEvT0_PT1_PKS1_S3_NS_24const_host_device_scalarIS2_EES7_21rocsparse_index_base_b,"axG",@progbits,_ZN9rocsparseL11roti_kernelILj512EldEEvT0_PT1_PKS1_S3_NS_24const_host_device_scalarIS2_EES7_21rocsparse_index_base_b,comdat
	.globl	_ZN9rocsparseL11roti_kernelILj512EldEEvT0_PT1_PKS1_S3_NS_24const_host_device_scalarIS2_EES7_21rocsparse_index_base_b ; -- Begin function _ZN9rocsparseL11roti_kernelILj512EldEEvT0_PT1_PKS1_S3_NS_24const_host_device_scalarIS2_EES7_21rocsparse_index_base_b
	.p2align	8
	.type	_ZN9rocsparseL11roti_kernelILj512EldEEvT0_PT1_PKS1_S3_NS_24const_host_device_scalarIS2_EES7_21rocsparse_index_base_b,@function
_ZN9rocsparseL11roti_kernelILj512EldEEvT0_PT1_PKS1_S3_NS_24const_host_device_scalarIS2_EES7_21rocsparse_index_base_b: ; @_ZN9rocsparseL11roti_kernelILj512EldEEvT0_PT1_PKS1_S3_NS_24const_host_device_scalarIS2_EES7_21rocsparse_index_base_b
; %bb.0:
	s_load_dwordx2 s[8:9], s[4:5], 0x30
	s_load_dwordx4 s[0:3], s[4:5], 0x20
	s_waitcnt lgkmcnt(0)
	s_bitcmp1_b32 s9, 0
	s_cselect_b64 s[12:13], -1, 0
	v_mov_b32_e32 v2, s1
	s_xor_b64 s[10:11], s[12:13], -1
	s_and_b64 vcc, exec, s[12:13]
	v_mov_b32_e32 v1, s0
	s_cbranch_vccnz .LBB6_2
; %bb.1:
	v_mov_b32_e32 v2, s1
	v_mov_b32_e32 v1, s0
	flat_load_dwordx2 v[1:2], v[1:2]
.LBB6_2:
	v_mov_b32_e32 v4, s3
	s_andn2_b64 vcc, exec, s[10:11]
	v_mov_b32_e32 v3, s2
	s_cbranch_vccnz .LBB6_4
; %bb.3:
	v_mov_b32_e32 v4, s3
	v_mov_b32_e32 v3, s2
	flat_load_dwordx2 v[3:4], v[3:4]
.LBB6_4:
	s_waitcnt vmcnt(0) lgkmcnt(0)
	v_cmp_neq_f64_e32 vcc, 1.0, v[1:2]
	v_cmp_neq_f64_e64 s[0:1], 0, v[3:4]
	s_or_b64 s[0:1], vcc, s[0:1]
	s_and_saveexec_b64 s[2:3], s[0:1]
	s_cbranch_execz .LBB6_7
; %bb.5:
	s_load_dwordx2 s[0:1], s[4:5], 0x0
	v_lshl_or_b32 v5, s6, 9, v0
	v_mov_b32_e32 v6, 0
	s_waitcnt lgkmcnt(0)
	v_cmp_gt_i64_e32 vcc, s[0:1], v[5:6]
	s_and_b64 exec, exec, vcc
	s_cbranch_execz .LBB6_7
; %bb.6:
	s_load_dwordx4 s[0:3], s[4:5], 0x8
	s_load_dwordx2 s[6:7], s[4:5], 0x18
	v_lshlrev_b64 v[5:6], 3, v[5:6]
	s_waitcnt lgkmcnt(0)
	v_mov_b32_e32 v0, s3
	v_add_co_u32_e32 v7, vcc, s2, v5
	v_addc_co_u32_e32 v8, vcc, v0, v6, vcc
	global_load_dwordx2 v[7:8], v[7:8], off
	v_mov_b32_e32 v0, s1
	v_add_co_u32_e32 v5, vcc, s0, v5
	v_addc_co_u32_e32 v6, vcc, v0, v6, vcc
	v_mov_b32_e32 v9, s7
	s_waitcnt vmcnt(0)
	v_subrev_co_u32_e32 v7, vcc, s8, v7
	v_subbrev_co_u32_e32 v8, vcc, 0, v8, vcc
	v_lshlrev_b64 v[7:8], 3, v[7:8]
	v_add_co_u32_e32 v7, vcc, s6, v7
	v_addc_co_u32_e32 v8, vcc, v9, v8, vcc
	global_load_dwordx2 v[9:10], v[7:8], off
	global_load_dwordx2 v[11:12], v[5:6], off
	s_waitcnt vmcnt(1)
	v_mul_f64 v[13:14], v[3:4], v[9:10]
	s_waitcnt vmcnt(0)
	v_mul_f64 v[3:4], v[3:4], v[11:12]
	v_fma_f64 v[11:12], v[1:2], v[11:12], v[13:14]
	v_fma_f64 v[0:1], v[1:2], v[9:10], -v[3:4]
	global_store_dwordx2 v[5:6], v[11:12], off
	global_store_dwordx2 v[7:8], v[0:1], off
.LBB6_7:
	s_endpgm
	.section	.rodata,"a",@progbits
	.p2align	6, 0x0
	.amdhsa_kernel _ZN9rocsparseL11roti_kernelILj512EldEEvT0_PT1_PKS1_S3_NS_24const_host_device_scalarIS2_EES7_21rocsparse_index_base_b
		.amdhsa_group_segment_fixed_size 0
		.amdhsa_private_segment_fixed_size 0
		.amdhsa_kernarg_size 56
		.amdhsa_user_sgpr_count 6
		.amdhsa_user_sgpr_private_segment_buffer 1
		.amdhsa_user_sgpr_dispatch_ptr 0
		.amdhsa_user_sgpr_queue_ptr 0
		.amdhsa_user_sgpr_kernarg_segment_ptr 1
		.amdhsa_user_sgpr_dispatch_id 0
		.amdhsa_user_sgpr_flat_scratch_init 0
		.amdhsa_user_sgpr_private_segment_size 0
		.amdhsa_uses_dynamic_stack 0
		.amdhsa_system_sgpr_private_segment_wavefront_offset 0
		.amdhsa_system_sgpr_workgroup_id_x 1
		.amdhsa_system_sgpr_workgroup_id_y 0
		.amdhsa_system_sgpr_workgroup_id_z 0
		.amdhsa_system_sgpr_workgroup_info 0
		.amdhsa_system_vgpr_workitem_id 0
		.amdhsa_next_free_vgpr 15
		.amdhsa_next_free_sgpr 14
		.amdhsa_reserve_vcc 1
		.amdhsa_reserve_flat_scratch 0
		.amdhsa_float_round_mode_32 0
		.amdhsa_float_round_mode_16_64 0
		.amdhsa_float_denorm_mode_32 3
		.amdhsa_float_denorm_mode_16_64 3
		.amdhsa_dx10_clamp 1
		.amdhsa_ieee_mode 1
		.amdhsa_fp16_overflow 0
		.amdhsa_exception_fp_ieee_invalid_op 0
		.amdhsa_exception_fp_denorm_src 0
		.amdhsa_exception_fp_ieee_div_zero 0
		.amdhsa_exception_fp_ieee_overflow 0
		.amdhsa_exception_fp_ieee_underflow 0
		.amdhsa_exception_fp_ieee_inexact 0
		.amdhsa_exception_int_div_zero 0
	.end_amdhsa_kernel
	.section	.text._ZN9rocsparseL11roti_kernelILj512EldEEvT0_PT1_PKS1_S3_NS_24const_host_device_scalarIS2_EES7_21rocsparse_index_base_b,"axG",@progbits,_ZN9rocsparseL11roti_kernelILj512EldEEvT0_PT1_PKS1_S3_NS_24const_host_device_scalarIS2_EES7_21rocsparse_index_base_b,comdat
.Lfunc_end6:
	.size	_ZN9rocsparseL11roti_kernelILj512EldEEvT0_PT1_PKS1_S3_NS_24const_host_device_scalarIS2_EES7_21rocsparse_index_base_b, .Lfunc_end6-_ZN9rocsparseL11roti_kernelILj512EldEEvT0_PT1_PKS1_S3_NS_24const_host_device_scalarIS2_EES7_21rocsparse_index_base_b
                                        ; -- End function
	.set _ZN9rocsparseL11roti_kernelILj512EldEEvT0_PT1_PKS1_S3_NS_24const_host_device_scalarIS2_EES7_21rocsparse_index_base_b.num_vgpr, 15
	.set _ZN9rocsparseL11roti_kernelILj512EldEEvT0_PT1_PKS1_S3_NS_24const_host_device_scalarIS2_EES7_21rocsparse_index_base_b.num_agpr, 0
	.set _ZN9rocsparseL11roti_kernelILj512EldEEvT0_PT1_PKS1_S3_NS_24const_host_device_scalarIS2_EES7_21rocsparse_index_base_b.numbered_sgpr, 14
	.set _ZN9rocsparseL11roti_kernelILj512EldEEvT0_PT1_PKS1_S3_NS_24const_host_device_scalarIS2_EES7_21rocsparse_index_base_b.num_named_barrier, 0
	.set _ZN9rocsparseL11roti_kernelILj512EldEEvT0_PT1_PKS1_S3_NS_24const_host_device_scalarIS2_EES7_21rocsparse_index_base_b.private_seg_size, 0
	.set _ZN9rocsparseL11roti_kernelILj512EldEEvT0_PT1_PKS1_S3_NS_24const_host_device_scalarIS2_EES7_21rocsparse_index_base_b.uses_vcc, 1
	.set _ZN9rocsparseL11roti_kernelILj512EldEEvT0_PT1_PKS1_S3_NS_24const_host_device_scalarIS2_EES7_21rocsparse_index_base_b.uses_flat_scratch, 0
	.set _ZN9rocsparseL11roti_kernelILj512EldEEvT0_PT1_PKS1_S3_NS_24const_host_device_scalarIS2_EES7_21rocsparse_index_base_b.has_dyn_sized_stack, 0
	.set _ZN9rocsparseL11roti_kernelILj512EldEEvT0_PT1_PKS1_S3_NS_24const_host_device_scalarIS2_EES7_21rocsparse_index_base_b.has_recursion, 0
	.set _ZN9rocsparseL11roti_kernelILj512EldEEvT0_PT1_PKS1_S3_NS_24const_host_device_scalarIS2_EES7_21rocsparse_index_base_b.has_indirect_call, 0
	.section	.AMDGPU.csdata,"",@progbits
; Kernel info:
; codeLenInByte = 328
; TotalNumSgprs: 18
; NumVgprs: 15
; ScratchSize: 0
; MemoryBound: 0
; FloatMode: 240
; IeeeMode: 1
; LDSByteSize: 0 bytes/workgroup (compile time only)
; SGPRBlocks: 2
; VGPRBlocks: 3
; NumSGPRsForWavesPerEU: 18
; NumVGPRsForWavesPerEU: 15
; Occupancy: 10
; WaveLimiterHint : 1
; COMPUTE_PGM_RSRC2:SCRATCH_EN: 0
; COMPUTE_PGM_RSRC2:USER_SGPR: 6
; COMPUTE_PGM_RSRC2:TRAP_HANDLER: 0
; COMPUTE_PGM_RSRC2:TGID_X_EN: 1
; COMPUTE_PGM_RSRC2:TGID_Y_EN: 0
; COMPUTE_PGM_RSRC2:TGID_Z_EN: 0
; COMPUTE_PGM_RSRC2:TIDIG_COMP_CNT: 0
	.section	.text._ZN9rocsparseL11roti_kernelILj512El21rocsparse_complex_numIdEEEvT0_PT1_PKS3_S5_NS_24const_host_device_scalarIS4_EES9_21rocsparse_index_base_b,"axG",@progbits,_ZN9rocsparseL11roti_kernelILj512El21rocsparse_complex_numIdEEEvT0_PT1_PKS3_S5_NS_24const_host_device_scalarIS4_EES9_21rocsparse_index_base_b,comdat
	.globl	_ZN9rocsparseL11roti_kernelILj512El21rocsparse_complex_numIdEEEvT0_PT1_PKS3_S5_NS_24const_host_device_scalarIS4_EES9_21rocsparse_index_base_b ; -- Begin function _ZN9rocsparseL11roti_kernelILj512El21rocsparse_complex_numIdEEEvT0_PT1_PKS3_S5_NS_24const_host_device_scalarIS4_EES9_21rocsparse_index_base_b
	.p2align	8
	.type	_ZN9rocsparseL11roti_kernelILj512El21rocsparse_complex_numIdEEEvT0_PT1_PKS3_S5_NS_24const_host_device_scalarIS4_EES9_21rocsparse_index_base_b,@function
_ZN9rocsparseL11roti_kernelILj512El21rocsparse_complex_numIdEEEvT0_PT1_PKS3_S5_NS_24const_host_device_scalarIS4_EES9_21rocsparse_index_base_b: ; @_ZN9rocsparseL11roti_kernelILj512El21rocsparse_complex_numIdEEEvT0_PT1_PKS3_S5_NS_24const_host_device_scalarIS4_EES9_21rocsparse_index_base_b
; %bb.0:
	s_load_dwordx2 s[0:1], s[4:5], 0x20
	s_load_dwordx2 s[2:3], s[4:5], 0x30
	;; [unrolled: 1-line block ×3, first 2 shown]
	s_add_u32 s7, s4, 32
	s_addc_u32 s10, s5, 0
	s_add_u32 s11, s4, 48
	s_addc_u32 s12, s5, 0
	s_waitcnt lgkmcnt(0)
	s_bitcmp1_b32 s9, 0
	s_cselect_b32 s1, s10, s1
	s_cselect_b32 s0, s7, s0
	v_mov_b32_e32 v1, s0
	v_mov_b32_e32 v2, s1
	flat_load_dwordx4 v[1:4], v[1:2]
	s_cselect_b32 s0, s12, s3
	s_cselect_b32 s1, s11, s2
	v_mov_b32_e32 v5, s1
	v_mov_b32_e32 v6, s0
	flat_load_dwordx4 v[5:8], v[5:6]
	s_waitcnt vmcnt(0) lgkmcnt(0)
	v_cmp_eq_f64_e32 vcc, 1.0, v[1:2]
	v_cmp_eq_f64_e64 s[0:1], 0, v[3:4]
	s_and_b64 s[10:11], vcc, s[0:1]
	s_mov_b64 s[0:1], -1
	s_and_saveexec_b64 s[2:3], s[10:11]
	s_cbranch_execz .LBB7_2
; %bb.1:
	v_cmp_neq_f64_e32 vcc, 0, v[5:6]
	v_cmp_neq_f64_e64 s[0:1], 0, v[7:8]
	s_or_b64 s[0:1], vcc, s[0:1]
	s_orn2_b64 s[0:1], s[0:1], exec
.LBB7_2:
	s_or_b64 exec, exec, s[2:3]
	s_and_saveexec_b64 s[2:3], s[0:1]
	s_cbranch_execz .LBB7_5
; %bb.3:
	s_load_dwordx2 s[0:1], s[4:5], 0x0
	v_lshl_or_b32 v9, s6, 9, v0
	v_mov_b32_e32 v10, 0
	s_waitcnt lgkmcnt(0)
	v_cmp_gt_i64_e32 vcc, s[0:1], v[9:10]
	s_and_b64 exec, exec, vcc
	s_cbranch_execz .LBB7_5
; %bb.4:
	s_load_dwordx4 s[0:3], s[4:5], 0x8
	v_lshlrev_b64 v[11:12], 4, v[9:10]
	v_lshlrev_b64 v[9:10], 3, v[9:10]
	s_load_dwordx2 s[4:5], s[4:5], 0x18
	s_waitcnt lgkmcnt(0)
	v_mov_b32_e32 v0, s1
	v_add_co_u32_e32 v15, vcc, s0, v11
	v_addc_co_u32_e32 v16, vcc, v0, v12, vcc
	v_mov_b32_e32 v0, s3
	v_add_co_u32_e32 v9, vcc, s2, v9
	v_addc_co_u32_e32 v10, vcc, v0, v10, vcc
	global_load_dwordx2 v[9:10], v[9:10], off
	v_mov_b32_e32 v0, s5
	global_load_dwordx4 v[11:14], v[15:16], off
	s_waitcnt vmcnt(1)
	v_subrev_co_u32_e32 v9, vcc, s8, v9
	v_subbrev_co_u32_e32 v10, vcc, 0, v10, vcc
	v_lshlrev_b64 v[9:10], 4, v[9:10]
	s_waitcnt vmcnt(0)
	v_mul_f64 v[17:18], v[13:14], -v[3:4]
	v_add_co_u32_e32 v21, vcc, s4, v9
	v_mul_f64 v[19:20], v[1:2], v[13:14]
	v_addc_co_u32_e32 v22, vcc, v0, v10, vcc
	v_mul_f64 v[9:10], v[13:14], -v[7:8]
	v_mul_f64 v[13:14], v[5:6], v[13:14]
	v_fma_f64 v[17:18], v[1:2], v[11:12], v[17:18]
	v_fma_f64 v[19:20], v[3:4], v[11:12], v[19:20]
	;; [unrolled: 1-line block ×4, first 2 shown]
	global_load_dwordx4 v[9:12], v[21:22], off
	s_waitcnt vmcnt(0)
	v_mul_f64 v[25:26], v[11:12], -v[7:8]
	v_fma_f64 v[25:26], v[5:6], v[9:10], v[25:26]
	v_mul_f64 v[5:6], v[5:6], v[11:12]
	v_fma_f64 v[5:6], v[7:8], v[9:10], v[5:6]
	v_mul_f64 v[7:8], v[11:12], -v[3:4]
	v_fma_f64 v[7:8], v[1:2], v[9:10], v[7:8]
	v_mul_f64 v[0:1], v[1:2], v[11:12]
	v_fma_f64 v[9:10], v[3:4], v[9:10], v[0:1]
	v_add_f64 v[0:1], v[17:18], v[25:26]
	v_add_f64 v[2:3], v[19:20], v[5:6]
	v_add_f64 v[4:5], v[7:8], -v[23:24]
	v_add_f64 v[6:7], v[9:10], -v[13:14]
	global_store_dwordx4 v[15:16], v[0:3], off
	global_store_dwordx4 v[21:22], v[4:7], off
.LBB7_5:
	s_endpgm
	.section	.rodata,"a",@progbits
	.p2align	6, 0x0
	.amdhsa_kernel _ZN9rocsparseL11roti_kernelILj512El21rocsparse_complex_numIdEEEvT0_PT1_PKS3_S5_NS_24const_host_device_scalarIS4_EES9_21rocsparse_index_base_b
		.amdhsa_group_segment_fixed_size 0
		.amdhsa_private_segment_fixed_size 0
		.amdhsa_kernarg_size 72
		.amdhsa_user_sgpr_count 6
		.amdhsa_user_sgpr_private_segment_buffer 1
		.amdhsa_user_sgpr_dispatch_ptr 0
		.amdhsa_user_sgpr_queue_ptr 0
		.amdhsa_user_sgpr_kernarg_segment_ptr 1
		.amdhsa_user_sgpr_dispatch_id 0
		.amdhsa_user_sgpr_flat_scratch_init 0
		.amdhsa_user_sgpr_private_segment_size 0
		.amdhsa_uses_dynamic_stack 0
		.amdhsa_system_sgpr_private_segment_wavefront_offset 0
		.amdhsa_system_sgpr_workgroup_id_x 1
		.amdhsa_system_sgpr_workgroup_id_y 0
		.amdhsa_system_sgpr_workgroup_id_z 0
		.amdhsa_system_sgpr_workgroup_info 0
		.amdhsa_system_vgpr_workitem_id 0
		.amdhsa_next_free_vgpr 27
		.amdhsa_next_free_sgpr 13
		.amdhsa_reserve_vcc 1
		.amdhsa_reserve_flat_scratch 0
		.amdhsa_float_round_mode_32 0
		.amdhsa_float_round_mode_16_64 0
		.amdhsa_float_denorm_mode_32 3
		.amdhsa_float_denorm_mode_16_64 3
		.amdhsa_dx10_clamp 1
		.amdhsa_ieee_mode 1
		.amdhsa_fp16_overflow 0
		.amdhsa_exception_fp_ieee_invalid_op 0
		.amdhsa_exception_fp_denorm_src 0
		.amdhsa_exception_fp_ieee_div_zero 0
		.amdhsa_exception_fp_ieee_overflow 0
		.amdhsa_exception_fp_ieee_underflow 0
		.amdhsa_exception_fp_ieee_inexact 0
		.amdhsa_exception_int_div_zero 0
	.end_amdhsa_kernel
	.section	.text._ZN9rocsparseL11roti_kernelILj512El21rocsparse_complex_numIdEEEvT0_PT1_PKS3_S5_NS_24const_host_device_scalarIS4_EES9_21rocsparse_index_base_b,"axG",@progbits,_ZN9rocsparseL11roti_kernelILj512El21rocsparse_complex_numIdEEEvT0_PT1_PKS3_S5_NS_24const_host_device_scalarIS4_EES9_21rocsparse_index_base_b,comdat
.Lfunc_end7:
	.size	_ZN9rocsparseL11roti_kernelILj512El21rocsparse_complex_numIdEEEvT0_PT1_PKS3_S5_NS_24const_host_device_scalarIS4_EES9_21rocsparse_index_base_b, .Lfunc_end7-_ZN9rocsparseL11roti_kernelILj512El21rocsparse_complex_numIdEEEvT0_PT1_PKS3_S5_NS_24const_host_device_scalarIS4_EES9_21rocsparse_index_base_b
                                        ; -- End function
	.set _ZN9rocsparseL11roti_kernelILj512El21rocsparse_complex_numIdEEEvT0_PT1_PKS3_S5_NS_24const_host_device_scalarIS4_EES9_21rocsparse_index_base_b.num_vgpr, 27
	.set _ZN9rocsparseL11roti_kernelILj512El21rocsparse_complex_numIdEEEvT0_PT1_PKS3_S5_NS_24const_host_device_scalarIS4_EES9_21rocsparse_index_base_b.num_agpr, 0
	.set _ZN9rocsparseL11roti_kernelILj512El21rocsparse_complex_numIdEEEvT0_PT1_PKS3_S5_NS_24const_host_device_scalarIS4_EES9_21rocsparse_index_base_b.numbered_sgpr, 13
	.set _ZN9rocsparseL11roti_kernelILj512El21rocsparse_complex_numIdEEEvT0_PT1_PKS3_S5_NS_24const_host_device_scalarIS4_EES9_21rocsparse_index_base_b.num_named_barrier, 0
	.set _ZN9rocsparseL11roti_kernelILj512El21rocsparse_complex_numIdEEEvT0_PT1_PKS3_S5_NS_24const_host_device_scalarIS4_EES9_21rocsparse_index_base_b.private_seg_size, 0
	.set _ZN9rocsparseL11roti_kernelILj512El21rocsparse_complex_numIdEEEvT0_PT1_PKS3_S5_NS_24const_host_device_scalarIS4_EES9_21rocsparse_index_base_b.uses_vcc, 1
	.set _ZN9rocsparseL11roti_kernelILj512El21rocsparse_complex_numIdEEEvT0_PT1_PKS3_S5_NS_24const_host_device_scalarIS4_EES9_21rocsparse_index_base_b.uses_flat_scratch, 0
	.set _ZN9rocsparseL11roti_kernelILj512El21rocsparse_complex_numIdEEEvT0_PT1_PKS3_S5_NS_24const_host_device_scalarIS4_EES9_21rocsparse_index_base_b.has_dyn_sized_stack, 0
	.set _ZN9rocsparseL11roti_kernelILj512El21rocsparse_complex_numIdEEEvT0_PT1_PKS3_S5_NS_24const_host_device_scalarIS4_EES9_21rocsparse_index_base_b.has_recursion, 0
	.set _ZN9rocsparseL11roti_kernelILj512El21rocsparse_complex_numIdEEEvT0_PT1_PKS3_S5_NS_24const_host_device_scalarIS4_EES9_21rocsparse_index_base_b.has_indirect_call, 0
	.section	.AMDGPU.csdata,"",@progbits
; Kernel info:
; codeLenInByte = 500
; TotalNumSgprs: 17
; NumVgprs: 27
; ScratchSize: 0
; MemoryBound: 0
; FloatMode: 240
; IeeeMode: 1
; LDSByteSize: 0 bytes/workgroup (compile time only)
; SGPRBlocks: 2
; VGPRBlocks: 6
; NumSGPRsForWavesPerEU: 17
; NumVGPRsForWavesPerEU: 27
; Occupancy: 9
; WaveLimiterHint : 1
; COMPUTE_PGM_RSRC2:SCRATCH_EN: 0
; COMPUTE_PGM_RSRC2:USER_SGPR: 6
; COMPUTE_PGM_RSRC2:TRAP_HANDLER: 0
; COMPUTE_PGM_RSRC2:TGID_X_EN: 1
; COMPUTE_PGM_RSRC2:TGID_Y_EN: 0
; COMPUTE_PGM_RSRC2:TGID_Z_EN: 0
; COMPUTE_PGM_RSRC2:TIDIG_COMP_CNT: 0
	.section	.AMDGPU.gpr_maximums,"",@progbits
	.set amdgpu.max_num_vgpr, 0
	.set amdgpu.max_num_agpr, 0
	.set amdgpu.max_num_sgpr, 0
	.section	.AMDGPU.csdata,"",@progbits
	.type	__hip_cuid_1badbbfa60326e7d,@object ; @__hip_cuid_1badbbfa60326e7d
	.section	.bss,"aw",@nobits
	.globl	__hip_cuid_1badbbfa60326e7d
__hip_cuid_1badbbfa60326e7d:
	.byte	0                               ; 0x0
	.size	__hip_cuid_1badbbfa60326e7d, 1

	.ident	"AMD clang version 22.0.0git (https://github.com/RadeonOpenCompute/llvm-project roc-7.2.4 26084 f58b06dce1f9c15707c5f808fd002e18c2accf7e)"
	.section	".note.GNU-stack","",@progbits
	.addrsig
	.addrsig_sym __hip_cuid_1badbbfa60326e7d
	.amdgpu_metadata
---
amdhsa.kernels:
  - .args:
      - .offset:         0
        .size:           4
        .value_kind:     by_value
      - .address_space:  global
        .offset:         8
        .size:           8
        .value_kind:     global_buffer
      - .actual_access:  read_only
        .address_space:  global
        .offset:         16
        .size:           8
        .value_kind:     global_buffer
      - .address_space:  global
        .offset:         24
        .size:           8
        .value_kind:     global_buffer
      - .offset:         32
        .size:           8
        .value_kind:     by_value
      - .offset:         40
        .size:           8
        .value_kind:     by_value
      - .offset:         48
        .size:           4
        .value_kind:     by_value
      - .offset:         52
        .size:           1
        .value_kind:     by_value
    .group_segment_fixed_size: 0
    .kernarg_segment_align: 8
    .kernarg_segment_size: 56
    .language:       OpenCL C
    .language_version:
      - 2
      - 0
    .max_flat_workgroup_size: 512
    .name:           _ZN9rocsparseL11roti_kernelILj512EifEEvT0_PT1_PKS1_S3_NS_24const_host_device_scalarIS2_EES7_21rocsparse_index_base_b
    .private_segment_fixed_size: 0
    .sgpr_count:     20
    .sgpr_spill_count: 0
    .symbol:         _ZN9rocsparseL11roti_kernelILj512EifEEvT0_PT1_PKS1_S3_NS_24const_host_device_scalarIS2_EES7_21rocsparse_index_base_b.kd
    .uniform_work_group_size: 1
    .uses_dynamic_stack: false
    .vgpr_count:     8
    .vgpr_spill_count: 0
    .wavefront_size: 64
  - .args:
      - .offset:         0
        .size:           4
        .value_kind:     by_value
      - .address_space:  global
        .offset:         8
        .size:           8
        .value_kind:     global_buffer
      - .actual_access:  read_only
        .address_space:  global
        .offset:         16
        .size:           8
        .value_kind:     global_buffer
      - .address_space:  global
        .offset:         24
        .size:           8
        .value_kind:     global_buffer
      - .offset:         32
        .size:           8
        .value_kind:     by_value
      - .offset:         40
        .size:           8
        .value_kind:     by_value
      - .offset:         48
        .size:           4
        .value_kind:     by_value
      - .offset:         52
        .size:           1
        .value_kind:     by_value
    .group_segment_fixed_size: 0
    .kernarg_segment_align: 8
    .kernarg_segment_size: 56
    .language:       OpenCL C
    .language_version:
      - 2
      - 0
    .max_flat_workgroup_size: 512
    .name:           _ZN9rocsparseL11roti_kernelILj512Ei21rocsparse_complex_numIfEEEvT0_PT1_PKS3_S5_NS_24const_host_device_scalarIS4_EES9_21rocsparse_index_base_b
    .private_segment_fixed_size: 0
    .sgpr_count:     17
    .sgpr_spill_count: 0
    .symbol:         _ZN9rocsparseL11roti_kernelILj512Ei21rocsparse_complex_numIfEEEvT0_PT1_PKS3_S5_NS_24const_host_device_scalarIS4_EES9_21rocsparse_index_base_b.kd
    .uniform_work_group_size: 1
    .uses_dynamic_stack: false
    .vgpr_count:     17
    .vgpr_spill_count: 0
    .wavefront_size: 64
  - .args:
      - .offset:         0
        .size:           4
        .value_kind:     by_value
      - .address_space:  global
        .offset:         8
        .size:           8
        .value_kind:     global_buffer
      - .actual_access:  read_only
        .address_space:  global
        .offset:         16
        .size:           8
        .value_kind:     global_buffer
      - .address_space:  global
        .offset:         24
        .size:           8
        .value_kind:     global_buffer
      - .offset:         32
        .size:           8
        .value_kind:     by_value
      - .offset:         40
        .size:           8
        .value_kind:     by_value
      - .offset:         48
        .size:           4
        .value_kind:     by_value
      - .offset:         52
        .size:           1
        .value_kind:     by_value
    .group_segment_fixed_size: 0
    .kernarg_segment_align: 8
    .kernarg_segment_size: 56
    .language:       OpenCL C
    .language_version:
      - 2
      - 0
    .max_flat_workgroup_size: 512
    .name:           _ZN9rocsparseL11roti_kernelILj512EidEEvT0_PT1_PKS1_S3_NS_24const_host_device_scalarIS2_EES7_21rocsparse_index_base_b
    .private_segment_fixed_size: 0
    .sgpr_count:     18
    .sgpr_spill_count: 0
    .symbol:         _ZN9rocsparseL11roti_kernelILj512EidEEvT0_PT1_PKS1_S3_NS_24const_host_device_scalarIS2_EES7_21rocsparse_index_base_b.kd
    .uniform_work_group_size: 1
    .uses_dynamic_stack: false
    .vgpr_count:     15
    .vgpr_spill_count: 0
    .wavefront_size: 64
  - .args:
      - .offset:         0
        .size:           4
        .value_kind:     by_value
      - .address_space:  global
        .offset:         8
        .size:           8
        .value_kind:     global_buffer
      - .actual_access:  read_only
        .address_space:  global
        .offset:         16
        .size:           8
        .value_kind:     global_buffer
      - .address_space:  global
        .offset:         24
        .size:           8
        .value_kind:     global_buffer
      - .offset:         32
        .size:           16
        .value_kind:     by_value
      - .offset:         48
        .size:           16
        .value_kind:     by_value
      - .offset:         64
        .size:           4
        .value_kind:     by_value
      - .offset:         68
        .size:           1
        .value_kind:     by_value
    .group_segment_fixed_size: 0
    .kernarg_segment_align: 8
    .kernarg_segment_size: 72
    .language:       OpenCL C
    .language_version:
      - 2
      - 0
    .max_flat_workgroup_size: 512
    .name:           _ZN9rocsparseL11roti_kernelILj512Ei21rocsparse_complex_numIdEEEvT0_PT1_PKS3_S5_NS_24const_host_device_scalarIS4_EES9_21rocsparse_index_base_b
    .private_segment_fixed_size: 0
    .sgpr_count:     17
    .sgpr_spill_count: 0
    .symbol:         _ZN9rocsparseL11roti_kernelILj512Ei21rocsparse_complex_numIdEEEvT0_PT1_PKS3_S5_NS_24const_host_device_scalarIS4_EES9_21rocsparse_index_base_b.kd
    .uniform_work_group_size: 1
    .uses_dynamic_stack: false
    .vgpr_count:     27
    .vgpr_spill_count: 0
    .wavefront_size: 64
  - .args:
      - .offset:         0
        .size:           8
        .value_kind:     by_value
      - .address_space:  global
        .offset:         8
        .size:           8
        .value_kind:     global_buffer
      - .actual_access:  read_only
        .address_space:  global
        .offset:         16
        .size:           8
        .value_kind:     global_buffer
      - .address_space:  global
        .offset:         24
        .size:           8
        .value_kind:     global_buffer
      - .offset:         32
        .size:           8
        .value_kind:     by_value
      - .offset:         40
        .size:           8
        .value_kind:     by_value
      - .offset:         48
        .size:           4
        .value_kind:     by_value
      - .offset:         52
        .size:           1
        .value_kind:     by_value
    .group_segment_fixed_size: 0
    .kernarg_segment_align: 8
    .kernarg_segment_size: 56
    .language:       OpenCL C
    .language_version:
      - 2
      - 0
    .max_flat_workgroup_size: 512
    .name:           _ZN9rocsparseL11roti_kernelILj512ElfEEvT0_PT1_PKS1_S3_NS_24const_host_device_scalarIS2_EES7_21rocsparse_index_base_b
    .private_segment_fixed_size: 0
    .sgpr_count:     20
    .sgpr_spill_count: 0
    .symbol:         _ZN9rocsparseL11roti_kernelILj512ElfEEvT0_PT1_PKS1_S3_NS_24const_host_device_scalarIS2_EES7_21rocsparse_index_base_b.kd
    .uniform_work_group_size: 1
    .uses_dynamic_stack: false
    .vgpr_count:     8
    .vgpr_spill_count: 0
    .wavefront_size: 64
  - .args:
      - .offset:         0
        .size:           8
        .value_kind:     by_value
      - .address_space:  global
        .offset:         8
        .size:           8
        .value_kind:     global_buffer
      - .actual_access:  read_only
        .address_space:  global
        .offset:         16
        .size:           8
        .value_kind:     global_buffer
      - .address_space:  global
        .offset:         24
        .size:           8
        .value_kind:     global_buffer
      - .offset:         32
        .size:           8
        .value_kind:     by_value
      - .offset:         40
        .size:           8
        .value_kind:     by_value
      - .offset:         48
        .size:           4
        .value_kind:     by_value
      - .offset:         52
        .size:           1
        .value_kind:     by_value
    .group_segment_fixed_size: 0
    .kernarg_segment_align: 8
    .kernarg_segment_size: 56
    .language:       OpenCL C
    .language_version:
      - 2
      - 0
    .max_flat_workgroup_size: 512
    .name:           _ZN9rocsparseL11roti_kernelILj512El21rocsparse_complex_numIfEEEvT0_PT1_PKS3_S5_NS_24const_host_device_scalarIS4_EES9_21rocsparse_index_base_b
    .private_segment_fixed_size: 0
    .sgpr_count:     17
    .sgpr_spill_count: 0
    .symbol:         _ZN9rocsparseL11roti_kernelILj512El21rocsparse_complex_numIfEEEvT0_PT1_PKS3_S5_NS_24const_host_device_scalarIS4_EES9_21rocsparse_index_base_b.kd
    .uniform_work_group_size: 1
    .uses_dynamic_stack: false
    .vgpr_count:     17
    .vgpr_spill_count: 0
    .wavefront_size: 64
  - .args:
      - .offset:         0
        .size:           8
        .value_kind:     by_value
      - .address_space:  global
        .offset:         8
        .size:           8
        .value_kind:     global_buffer
      - .actual_access:  read_only
        .address_space:  global
        .offset:         16
        .size:           8
        .value_kind:     global_buffer
      - .address_space:  global
        .offset:         24
        .size:           8
        .value_kind:     global_buffer
      - .offset:         32
        .size:           8
        .value_kind:     by_value
      - .offset:         40
        .size:           8
        .value_kind:     by_value
      - .offset:         48
        .size:           4
        .value_kind:     by_value
      - .offset:         52
        .size:           1
        .value_kind:     by_value
    .group_segment_fixed_size: 0
    .kernarg_segment_align: 8
    .kernarg_segment_size: 56
    .language:       OpenCL C
    .language_version:
      - 2
      - 0
    .max_flat_workgroup_size: 512
    .name:           _ZN9rocsparseL11roti_kernelILj512EldEEvT0_PT1_PKS1_S3_NS_24const_host_device_scalarIS2_EES7_21rocsparse_index_base_b
    .private_segment_fixed_size: 0
    .sgpr_count:     18
    .sgpr_spill_count: 0
    .symbol:         _ZN9rocsparseL11roti_kernelILj512EldEEvT0_PT1_PKS1_S3_NS_24const_host_device_scalarIS2_EES7_21rocsparse_index_base_b.kd
    .uniform_work_group_size: 1
    .uses_dynamic_stack: false
    .vgpr_count:     15
    .vgpr_spill_count: 0
    .wavefront_size: 64
  - .args:
      - .offset:         0
        .size:           8
        .value_kind:     by_value
      - .address_space:  global
        .offset:         8
        .size:           8
        .value_kind:     global_buffer
      - .actual_access:  read_only
        .address_space:  global
        .offset:         16
        .size:           8
        .value_kind:     global_buffer
      - .address_space:  global
        .offset:         24
        .size:           8
        .value_kind:     global_buffer
      - .offset:         32
        .size:           16
        .value_kind:     by_value
      - .offset:         48
        .size:           16
        .value_kind:     by_value
      - .offset:         64
        .size:           4
        .value_kind:     by_value
      - .offset:         68
        .size:           1
        .value_kind:     by_value
    .group_segment_fixed_size: 0
    .kernarg_segment_align: 8
    .kernarg_segment_size: 72
    .language:       OpenCL C
    .language_version:
      - 2
      - 0
    .max_flat_workgroup_size: 512
    .name:           _ZN9rocsparseL11roti_kernelILj512El21rocsparse_complex_numIdEEEvT0_PT1_PKS3_S5_NS_24const_host_device_scalarIS4_EES9_21rocsparse_index_base_b
    .private_segment_fixed_size: 0
    .sgpr_count:     17
    .sgpr_spill_count: 0
    .symbol:         _ZN9rocsparseL11roti_kernelILj512El21rocsparse_complex_numIdEEEvT0_PT1_PKS3_S5_NS_24const_host_device_scalarIS4_EES9_21rocsparse_index_base_b.kd
    .uniform_work_group_size: 1
    .uses_dynamic_stack: false
    .vgpr_count:     27
    .vgpr_spill_count: 0
    .wavefront_size: 64
amdhsa.target:   amdgcn-amd-amdhsa--gfx906
amdhsa.version:
  - 1
  - 2
...

	.end_amdgpu_metadata
